;; amdgpu-corpus repo=LLNL/RAJAPerf kind=compiled arch=gfx906 opt=O3
	.amdgcn_target "amdgcn-amd-amdhsa--gfx906"
	.amdhsa_code_object_version 6
	.section	.text._ZN8rajaperf5basic7trapintILm256EEEvdddddPdl,"axG",@progbits,_ZN8rajaperf5basic7trapintILm256EEEvdddddPdl,comdat
	.protected	_ZN8rajaperf5basic7trapintILm256EEEvdddddPdl ; -- Begin function _ZN8rajaperf5basic7trapintILm256EEEvdddddPdl
	.globl	_ZN8rajaperf5basic7trapintILm256EEEvdddddPdl
	.p2align	8
	.type	_ZN8rajaperf5basic7trapintILm256EEEvdddddPdl,@function
_ZN8rajaperf5basic7trapintILm256EEEvdddddPdl: ; @_ZN8rajaperf5basic7trapintILm256EEEvdddddPdl
; %bb.0:
	s_load_dwordx8 s[16:23], s[4:5], 0x0
	s_load_dwordx8 s[8:15], s[4:5], 0x20
	s_mov_b32 s7, 0
	s_lshl_b64 s[0:1], s[6:7], 8
	v_or_b32_e32 v1, s0, v0
	v_mov_b32_e32 v2, s1
	v_mov_b32_e32 v3, 0
	s_waitcnt lgkmcnt(0)
	v_cmp_gt_i64_e32 vcc, s[12:13], v[1:2]
	v_lshl_add_u32 v9, v0, 3, 0
	v_mov_b32_e32 v4, v3
	ds_write_b64 v9, v[3:4]
	s_and_saveexec_b64 s[0:1], vcc
	s_cbranch_execz .LBB0_4
; %bb.1:
	v_mov_b32_e32 v3, s22
	v_mov_b32_e32 v4, s23
	v_add_f64 v[5:6], s[20:21], -v[3:4]
	s_load_dword s6, s[4:5], 0x38
	v_mov_b32_e32 v3, 0
	v_mov_b32_e32 v7, s16
	;; [unrolled: 1-line block ×3, first 2 shown]
	s_mov_b64 s[2:3], 0
	s_waitcnt lgkmcnt(0)
	s_lshl_b64 s[4:5], s[6:7], 8
	s_mov_b32 s6, 0
	v_mul_f64 v[5:6], v[5:6], v[5:6]
	v_mov_b32_e32 v8, s17
	s_brev_b32 s7, 8
	v_mov_b32_e32 v10, 0x260
	v_mov_b32_e32 v11, s5
.LBB0_2:                                ; =>This Inner Loop Header: Depth=1
	v_cvt_f64_i32_e32 v[12:13], v2
	v_cvt_f64_u32_e32 v[14:15], v1
	v_ldexp_f64 v[12:13], v[12:13], 32
	v_add_f64 v[12:13], v[12:13], v[14:15]
	v_mov_b32_e32 v14, 0x100
	v_fma_f64 v[12:13], s[8:9], v[12:13], v[7:8]
	v_add_f64 v[12:13], v[12:13], -s[18:19]
	v_fma_f64 v[12:13], v[12:13], v[12:13], v[5:6]
	v_cmp_gt_f64_e32 vcc, s[6:7], v[12:13]
	v_cndmask_b32_e32 v14, 0, v14, vcc
	v_ldexp_f64 v[12:13], v[12:13], v14
	v_rsq_f64_e32 v[14:15], v[12:13]
	v_mul_f64 v[16:17], v[12:13], v[14:15]
	v_mul_f64 v[14:15], v[14:15], 0.5
	v_fma_f64 v[18:19], -v[14:15], v[16:17], 0.5
	v_fma_f64 v[16:17], v[16:17], v[18:19], v[16:17]
	v_fma_f64 v[14:15], v[14:15], v[18:19], v[14:15]
	v_fma_f64 v[18:19], -v[16:17], v[16:17], v[12:13]
	v_fma_f64 v[16:17], v[18:19], v[14:15], v[16:17]
	v_fma_f64 v[18:19], -v[16:17], v[16:17], v[12:13]
	v_fma_f64 v[14:15], v[18:19], v[14:15], v[16:17]
	v_mov_b32_e32 v16, 0xffffff80
	v_cndmask_b32_e32 v16, 0, v16, vcc
	v_cmp_class_f64_e32 vcc, v[12:13], v10
	v_ldexp_f64 v[14:15], v[14:15], v16
	v_cndmask_b32_e32 v13, v15, v13, vcc
	v_cndmask_b32_e32 v12, v14, v12, vcc
	v_div_scale_f64 v[14:15], s[14:15], v[12:13], v[12:13], 1.0
	v_rcp_f64_e32 v[16:17], v[14:15]
	v_fma_f64 v[18:19], -v[14:15], v[16:17], 1.0
	v_fma_f64 v[16:17], v[16:17], v[18:19], v[16:17]
	v_div_scale_f64 v[18:19], vcc, 1.0, v[12:13], 1.0
	v_fma_f64 v[20:21], -v[14:15], v[16:17], 1.0
	v_fma_f64 v[16:17], v[16:17], v[20:21], v[16:17]
	v_mul_f64 v[20:21], v[18:19], v[16:17]
	v_fma_f64 v[14:15], -v[14:15], v[20:21], v[18:19]
	v_div_fmas_f64 v[14:15], v[14:15], v[16:17], v[20:21]
	v_add_co_u32_e32 v1, vcc, s4, v1
	v_addc_co_u32_e32 v2, vcc, v2, v11, vcc
	v_cmp_le_i64_e32 vcc, s[12:13], v[1:2]
	s_or_b64 s[2:3], vcc, s[2:3]
	v_div_fixup_f64 v[12:13], v[14:15], v[12:13], 1.0
	v_add_f64 v[3:4], v[12:13], v[3:4]
	s_andn2_b64 exec, exec, s[2:3]
	s_cbranch_execnz .LBB0_2
; %bb.3:
	s_or_b64 exec, exec, s[2:3]
	ds_write_b64 v9, v[3:4]
.LBB0_4:
	s_or_b64 exec, exec, s[0:1]
	s_movk_i32 s0, 0x80
	v_cmp_gt_u32_e32 vcc, s0, v0
	s_waitcnt lgkmcnt(0)
	s_barrier
	s_and_saveexec_b64 s[0:1], vcc
	s_cbranch_execz .LBB0_6
; %bb.5:
	ds_read2st64_b64 v[1:4], v9 offset1:2
	s_waitcnt lgkmcnt(0)
	v_add_f64 v[1:2], v[3:4], v[1:2]
	ds_write_b64 v9, v[1:2]
.LBB0_6:
	s_or_b64 exec, exec, s[0:1]
	v_cmp_gt_u32_e32 vcc, 64, v0
	s_waitcnt lgkmcnt(0)
	s_barrier
	s_and_saveexec_b64 s[0:1], vcc
	s_cbranch_execz .LBB0_8
; %bb.7:
	ds_read2st64_b64 v[1:4], v9 offset1:1
	s_waitcnt lgkmcnt(0)
	v_add_f64 v[1:2], v[3:4], v[1:2]
	ds_write_b64 v9, v[1:2]
.LBB0_8:
	s_or_b64 exec, exec, s[0:1]
	v_cmp_gt_u32_e32 vcc, 32, v0
	s_waitcnt lgkmcnt(0)
	s_barrier
	s_and_saveexec_b64 s[0:1], vcc
	s_cbranch_execz .LBB0_10
; %bb.9:
	ds_read2_b64 v[1:4], v9 offset1:32
	s_waitcnt lgkmcnt(0)
	v_add_f64 v[1:2], v[3:4], v[1:2]
	ds_write_b64 v9, v[1:2]
.LBB0_10:
	s_or_b64 exec, exec, s[0:1]
	v_cmp_gt_u32_e32 vcc, 16, v0
	s_waitcnt lgkmcnt(0)
	s_barrier
	s_and_saveexec_b64 s[0:1], vcc
	s_cbranch_execz .LBB0_12
; %bb.11:
	ds_read2_b64 v[1:4], v9 offset1:16
	s_waitcnt lgkmcnt(0)
	v_add_f64 v[1:2], v[3:4], v[1:2]
	ds_write_b64 v9, v[1:2]
.LBB0_12:
	s_or_b64 exec, exec, s[0:1]
	v_cmp_gt_u32_e32 vcc, 8, v0
	s_waitcnt lgkmcnt(0)
	s_barrier
	s_and_saveexec_b64 s[0:1], vcc
	s_cbranch_execz .LBB0_14
; %bb.13:
	ds_read2_b64 v[1:4], v9 offset1:8
	s_waitcnt lgkmcnt(0)
	v_add_f64 v[1:2], v[3:4], v[1:2]
	ds_write_b64 v9, v[1:2]
.LBB0_14:
	s_or_b64 exec, exec, s[0:1]
	v_cmp_gt_u32_e32 vcc, 4, v0
	s_waitcnt lgkmcnt(0)
	s_barrier
	s_and_saveexec_b64 s[0:1], vcc
	s_cbranch_execz .LBB0_16
; %bb.15:
	ds_read2_b64 v[1:4], v9 offset1:4
	s_waitcnt lgkmcnt(0)
	v_add_f64 v[1:2], v[3:4], v[1:2]
	ds_write_b64 v9, v[1:2]
.LBB0_16:
	s_or_b64 exec, exec, s[0:1]
	v_cmp_gt_u32_e32 vcc, 2, v0
	s_waitcnt lgkmcnt(0)
	s_barrier
	s_and_saveexec_b64 s[0:1], vcc
	s_cbranch_execz .LBB0_18
; %bb.17:
	ds_read2_b64 v[1:4], v9 offset1:2
	s_waitcnt lgkmcnt(0)
	v_add_f64 v[1:2], v[3:4], v[1:2]
	ds_write_b64 v9, v[1:2]
.LBB0_18:
	s_or_b64 exec, exec, s[0:1]
	v_cmp_eq_u32_e32 vcc, 0, v0
	s_waitcnt lgkmcnt(0)
	s_barrier
	s_and_saveexec_b64 s[0:1], vcc
	s_cbranch_execz .LBB0_20
; %bb.19:
	ds_read2_b64 v[0:3], v9 offset1:1
	s_waitcnt lgkmcnt(0)
	v_add_f64 v[0:1], v[2:3], v[0:1]
	ds_write_b64 v9, v[0:1]
.LBB0_20:
	s_or_b64 exec, exec, s[0:1]
	s_waitcnt lgkmcnt(0)
	s_barrier
	s_and_saveexec_b64 s[0:1], vcc
	s_cbranch_execz .LBB0_24
; %bb.21:
	s_mov_b64 s[0:1], exec
	v_mbcnt_lo_u32_b32 v0, s0, 0
	v_mbcnt_hi_u32_b32 v0, s1, v0
	v_cmp_eq_u32_e32 vcc, 0, v0
	s_and_b64 s[2:3], exec, vcc
	s_mov_b64 exec, s[2:3]
	s_cbranch_execz .LBB0_24
; %bb.22:
	v_mov_b32_e32 v6, 0
	ds_read_b64 v[0:1], v6
	s_bcnt1_i32_b64 s0, s[0:1]
	v_cvt_f64_u32_e32 v[2:3], s0
	s_load_dwordx2 s[2:3], s[10:11], 0x0
	s_mov_b64 s[0:1], 0
	s_waitcnt lgkmcnt(0)
	v_mul_f64 v[4:5], v[0:1], v[2:3]
	v_mov_b32_e32 v2, s2
	v_mov_b32_e32 v3, s3
.LBB0_23:                               ; =>This Inner Loop Header: Depth=1
	v_add_f64 v[0:1], v[2:3], v[4:5]
	global_atomic_cmpswap_x2 v[0:1], v6, v[0:3], s[10:11] glc
	s_waitcnt vmcnt(0)
	v_cmp_eq_u64_e32 vcc, v[0:1], v[2:3]
	v_mov_b32_e32 v3, v1
	s_or_b64 s[0:1], vcc, s[0:1]
	v_mov_b32_e32 v2, v0
	s_andn2_b64 exec, exec, s[0:1]
	s_cbranch_execnz .LBB0_23
.LBB0_24:
	s_endpgm
	.section	.rodata,"a",@progbits
	.p2align	6, 0x0
	.amdhsa_kernel _ZN8rajaperf5basic7trapintILm256EEEvdddddPdl
		.amdhsa_group_segment_fixed_size 0
		.amdhsa_private_segment_fixed_size 0
		.amdhsa_kernarg_size 312
		.amdhsa_user_sgpr_count 6
		.amdhsa_user_sgpr_private_segment_buffer 1
		.amdhsa_user_sgpr_dispatch_ptr 0
		.amdhsa_user_sgpr_queue_ptr 0
		.amdhsa_user_sgpr_kernarg_segment_ptr 1
		.amdhsa_user_sgpr_dispatch_id 0
		.amdhsa_user_sgpr_flat_scratch_init 0
		.amdhsa_user_sgpr_private_segment_size 0
		.amdhsa_uses_dynamic_stack 0
		.amdhsa_system_sgpr_private_segment_wavefront_offset 0
		.amdhsa_system_sgpr_workgroup_id_x 1
		.amdhsa_system_sgpr_workgroup_id_y 0
		.amdhsa_system_sgpr_workgroup_id_z 0
		.amdhsa_system_sgpr_workgroup_info 0
		.amdhsa_system_vgpr_workitem_id 0
		.amdhsa_next_free_vgpr 22
		.amdhsa_next_free_sgpr 24
		.amdhsa_reserve_vcc 1
		.amdhsa_reserve_flat_scratch 0
		.amdhsa_float_round_mode_32 0
		.amdhsa_float_round_mode_16_64 0
		.amdhsa_float_denorm_mode_32 3
		.amdhsa_float_denorm_mode_16_64 3
		.amdhsa_dx10_clamp 1
		.amdhsa_ieee_mode 1
		.amdhsa_fp16_overflow 0
		.amdhsa_exception_fp_ieee_invalid_op 0
		.amdhsa_exception_fp_denorm_src 0
		.amdhsa_exception_fp_ieee_div_zero 0
		.amdhsa_exception_fp_ieee_overflow 0
		.amdhsa_exception_fp_ieee_underflow 0
		.amdhsa_exception_fp_ieee_inexact 0
		.amdhsa_exception_int_div_zero 0
	.end_amdhsa_kernel
	.section	.text._ZN8rajaperf5basic7trapintILm256EEEvdddddPdl,"axG",@progbits,_ZN8rajaperf5basic7trapintILm256EEEvdddddPdl,comdat
.Lfunc_end0:
	.size	_ZN8rajaperf5basic7trapintILm256EEEvdddddPdl, .Lfunc_end0-_ZN8rajaperf5basic7trapintILm256EEEvdddddPdl
                                        ; -- End function
	.set _ZN8rajaperf5basic7trapintILm256EEEvdddddPdl.num_vgpr, 22
	.set _ZN8rajaperf5basic7trapintILm256EEEvdddddPdl.num_agpr, 0
	.set _ZN8rajaperf5basic7trapintILm256EEEvdddddPdl.numbered_sgpr, 24
	.set _ZN8rajaperf5basic7trapintILm256EEEvdddddPdl.num_named_barrier, 0
	.set _ZN8rajaperf5basic7trapintILm256EEEvdddddPdl.private_seg_size, 0
	.set _ZN8rajaperf5basic7trapintILm256EEEvdddddPdl.uses_vcc, 1
	.set _ZN8rajaperf5basic7trapintILm256EEEvdddddPdl.uses_flat_scratch, 0
	.set _ZN8rajaperf5basic7trapintILm256EEEvdddddPdl.has_dyn_sized_stack, 0
	.set _ZN8rajaperf5basic7trapintILm256EEEvdddddPdl.has_recursion, 0
	.set _ZN8rajaperf5basic7trapintILm256EEEvdddddPdl.has_indirect_call, 0
	.section	.AMDGPU.csdata,"",@progbits
; Kernel info:
; codeLenInByte = 1036
; TotalNumSgprs: 28
; NumVgprs: 22
; ScratchSize: 0
; MemoryBound: 0
; FloatMode: 240
; IeeeMode: 1
; LDSByteSize: 0 bytes/workgroup (compile time only)
; SGPRBlocks: 3
; VGPRBlocks: 5
; NumSGPRsForWavesPerEU: 28
; NumVGPRsForWavesPerEU: 22
; Occupancy: 10
; WaveLimiterHint : 0
; COMPUTE_PGM_RSRC2:SCRATCH_EN: 0
; COMPUTE_PGM_RSRC2:USER_SGPR: 6
; COMPUTE_PGM_RSRC2:TRAP_HANDLER: 0
; COMPUTE_PGM_RSRC2:TGID_X_EN: 1
; COMPUTE_PGM_RSRC2:TGID_Y_EN: 0
; COMPUTE_PGM_RSRC2:TGID_Z_EN: 0
; COMPUTE_PGM_RSRC2:TIDIG_COMP_CNT: 0
	.section	.text._ZN4RAJA6policy3hip4impl18forallp_hip_kernelINS1_8hip_execINS_17iteration_mapping6DirectENS_3hip11IndexGlobalILNS_9named_dimE0ELi256ELi0EEENS7_40AvoidDeviceMaxThreadOccupancyConcretizerINS7_34FractionOffsetOccupancyConcretizerINS_8FractionImLm1ELm1EEELln1EEEEELb1EEENS_9Iterators16numeric_iteratorIllPlEEZN8rajaperf5basic8TRAP_INT17runHipVariantRAJAILm256ENSM_13gpu_algorithm19block_atomic_helperENSM_11gpu_mapping20global_direct_helperEEEvNSM_9VariantIDEEUllE_lNS_4expt15ForallParamPackIJEEES6_SA_TnNSt9enable_ifIXaasr3std10is_base_ofINS5_10DirectBaseET4_EE5valuegtsrT5_10block_sizeLi0EEmE4typeELm256EEEvT1_T0_T2_T3_,"axG",@progbits,_ZN4RAJA6policy3hip4impl18forallp_hip_kernelINS1_8hip_execINS_17iteration_mapping6DirectENS_3hip11IndexGlobalILNS_9named_dimE0ELi256ELi0EEENS7_40AvoidDeviceMaxThreadOccupancyConcretizerINS7_34FractionOffsetOccupancyConcretizerINS_8FractionImLm1ELm1EEELln1EEEEELb1EEENS_9Iterators16numeric_iteratorIllPlEEZN8rajaperf5basic8TRAP_INT17runHipVariantRAJAILm256ENSM_13gpu_algorithm19block_atomic_helperENSM_11gpu_mapping20global_direct_helperEEEvNSM_9VariantIDEEUllE_lNS_4expt15ForallParamPackIJEEES6_SA_TnNSt9enable_ifIXaasr3std10is_base_ofINS5_10DirectBaseET4_EE5valuegtsrT5_10block_sizeLi0EEmE4typeELm256EEEvT1_T0_T2_T3_,comdat
	.protected	_ZN4RAJA6policy3hip4impl18forallp_hip_kernelINS1_8hip_execINS_17iteration_mapping6DirectENS_3hip11IndexGlobalILNS_9named_dimE0ELi256ELi0EEENS7_40AvoidDeviceMaxThreadOccupancyConcretizerINS7_34FractionOffsetOccupancyConcretizerINS_8FractionImLm1ELm1EEELln1EEEEELb1EEENS_9Iterators16numeric_iteratorIllPlEEZN8rajaperf5basic8TRAP_INT17runHipVariantRAJAILm256ENSM_13gpu_algorithm19block_atomic_helperENSM_11gpu_mapping20global_direct_helperEEEvNSM_9VariantIDEEUllE_lNS_4expt15ForallParamPackIJEEES6_SA_TnNSt9enable_ifIXaasr3std10is_base_ofINS5_10DirectBaseET4_EE5valuegtsrT5_10block_sizeLi0EEmE4typeELm256EEEvT1_T0_T2_T3_ ; -- Begin function _ZN4RAJA6policy3hip4impl18forallp_hip_kernelINS1_8hip_execINS_17iteration_mapping6DirectENS_3hip11IndexGlobalILNS_9named_dimE0ELi256ELi0EEENS7_40AvoidDeviceMaxThreadOccupancyConcretizerINS7_34FractionOffsetOccupancyConcretizerINS_8FractionImLm1ELm1EEELln1EEEEELb1EEENS_9Iterators16numeric_iteratorIllPlEEZN8rajaperf5basic8TRAP_INT17runHipVariantRAJAILm256ENSM_13gpu_algorithm19block_atomic_helperENSM_11gpu_mapping20global_direct_helperEEEvNSM_9VariantIDEEUllE_lNS_4expt15ForallParamPackIJEEES6_SA_TnNSt9enable_ifIXaasr3std10is_base_ofINS5_10DirectBaseET4_EE5valuegtsrT5_10block_sizeLi0EEmE4typeELm256EEEvT1_T0_T2_T3_
	.globl	_ZN4RAJA6policy3hip4impl18forallp_hip_kernelINS1_8hip_execINS_17iteration_mapping6DirectENS_3hip11IndexGlobalILNS_9named_dimE0ELi256ELi0EEENS7_40AvoidDeviceMaxThreadOccupancyConcretizerINS7_34FractionOffsetOccupancyConcretizerINS_8FractionImLm1ELm1EEELln1EEEEELb1EEENS_9Iterators16numeric_iteratorIllPlEEZN8rajaperf5basic8TRAP_INT17runHipVariantRAJAILm256ENSM_13gpu_algorithm19block_atomic_helperENSM_11gpu_mapping20global_direct_helperEEEvNSM_9VariantIDEEUllE_lNS_4expt15ForallParamPackIJEEES6_SA_TnNSt9enable_ifIXaasr3std10is_base_ofINS5_10DirectBaseET4_EE5valuegtsrT5_10block_sizeLi0EEmE4typeELm256EEEvT1_T0_T2_T3_
	.p2align	8
	.type	_ZN4RAJA6policy3hip4impl18forallp_hip_kernelINS1_8hip_execINS_17iteration_mapping6DirectENS_3hip11IndexGlobalILNS_9named_dimE0ELi256ELi0EEENS7_40AvoidDeviceMaxThreadOccupancyConcretizerINS7_34FractionOffsetOccupancyConcretizerINS_8FractionImLm1ELm1EEELln1EEEEELb1EEENS_9Iterators16numeric_iteratorIllPlEEZN8rajaperf5basic8TRAP_INT17runHipVariantRAJAILm256ENSM_13gpu_algorithm19block_atomic_helperENSM_11gpu_mapping20global_direct_helperEEEvNSM_9VariantIDEEUllE_lNS_4expt15ForallParamPackIJEEES6_SA_TnNSt9enable_ifIXaasr3std10is_base_ofINS5_10DirectBaseET4_EE5valuegtsrT5_10block_sizeLi0EEmE4typeELm256EEEvT1_T0_T2_T3_,@function
_ZN4RAJA6policy3hip4impl18forallp_hip_kernelINS1_8hip_execINS_17iteration_mapping6DirectENS_3hip11IndexGlobalILNS_9named_dimE0ELi256ELi0EEENS7_40AvoidDeviceMaxThreadOccupancyConcretizerINS7_34FractionOffsetOccupancyConcretizerINS_8FractionImLm1ELm1EEELln1EEEEELb1EEENS_9Iterators16numeric_iteratorIllPlEEZN8rajaperf5basic8TRAP_INT17runHipVariantRAJAILm256ENSM_13gpu_algorithm19block_atomic_helperENSM_11gpu_mapping20global_direct_helperEEEvNSM_9VariantIDEEUllE_lNS_4expt15ForallParamPackIJEEES6_SA_TnNSt9enable_ifIXaasr3std10is_base_ofINS5_10DirectBaseET4_EE5valuegtsrT5_10block_sizeLi0EEmE4typeELm256EEEvT1_T0_T2_T3_: ; @_ZN4RAJA6policy3hip4impl18forallp_hip_kernelINS1_8hip_execINS_17iteration_mapping6DirectENS_3hip11IndexGlobalILNS_9named_dimE0ELi256ELi0EEENS7_40AvoidDeviceMaxThreadOccupancyConcretizerINS7_34FractionOffsetOccupancyConcretizerINS_8FractionImLm1ELm1EEELln1EEEEELb1EEENS_9Iterators16numeric_iteratorIllPlEEZN8rajaperf5basic8TRAP_INT17runHipVariantRAJAILm256ENSM_13gpu_algorithm19block_atomic_helperENSM_11gpu_mapping20global_direct_helperEEEvNSM_9VariantIDEEUllE_lNS_4expt15ForallParamPackIJEEES6_SA_TnNSt9enable_ifIXaasr3std10is_base_ofINS5_10DirectBaseET4_EE5valuegtsrT5_10block_sizeLi0EEmE4typeELm256EEEvT1_T0_T2_T3_
; %bb.0:
	s_load_dwordx4 s[16:19], s[4:5], 0x50
	s_load_dwordx4 s[12:15], s[4:5], 0x10
	s_load_dwordx2 s[2:3], s[4:5], 0x28
	s_mov_b32 s0, s7
	s_mov_b32 s7, 0
	s_lshl_b64 s[10:11], s[6:7], 8
	v_or_b32_e32 v5, s10, v0
	v_mov_b32_e32 v6, s11
	s_waitcnt lgkmcnt(0)
	v_cmp_gt_i64_e32 vcc, s[18:19], v[5:6]
	v_mov_b32_e32 v4, s3
	v_mov_b32_e32 v3, s2
	s_and_saveexec_b64 s[10:11], vcc
	s_cbranch_execz .LBB1_2
; %bb.1:
	v_mov_b32_e32 v3, s17
	v_add_co_u32_e32 v5, vcc, s16, v5
	v_addc_co_u32_e32 v3, vcc, v6, v3, vcc
	v_cvt_f64_i32_e32 v[3:4], v3
	v_cvt_f64_u32_e32 v[5:6], v5
	s_load_dwordx4 s[16:19], s[4:5], 0x0
	s_load_dwordx4 s[20:23], s[4:5], 0x38
	v_ldexp_f64 v[3:4], v[3:4], 32
	v_add_f64 v[3:4], v[3:4], v[5:6]
	s_waitcnt lgkmcnt(0)
	v_mov_b32_e32 v5, s16
	v_mov_b32_e32 v6, s17
	v_fma_f64 v[3:4], s[18:19], v[3:4], v[5:6]
	s_load_dwordx4 s[16:19], s[4:5], 0x40
	s_waitcnt lgkmcnt(0)
	v_mov_b32_e32 v5, s18
	v_mov_b32_e32 v6, s19
	v_add_f64 v[3:4], v[3:4], -s[16:17]
	v_add_f64 v[5:6], s[20:21], -v[5:6]
	s_mov_b32 s16, 0
	s_brev_b32 s17, 8
	v_mul_f64 v[3:4], v[3:4], v[3:4]
	v_fma_f64 v[3:4], v[5:6], v[5:6], v[3:4]
	v_mov_b32_e32 v5, 0x100
	v_cmp_gt_f64_e32 vcc, s[16:17], v[3:4]
	v_cndmask_b32_e32 v5, 0, v5, vcc
	v_ldexp_f64 v[3:4], v[3:4], v5
	v_rsq_f64_e32 v[5:6], v[3:4]
	v_mul_f64 v[7:8], v[3:4], v[5:6]
	v_mul_f64 v[5:6], v[5:6], 0.5
	v_fma_f64 v[9:10], -v[5:6], v[7:8], 0.5
	v_fma_f64 v[7:8], v[7:8], v[9:10], v[7:8]
	v_fma_f64 v[5:6], v[5:6], v[9:10], v[5:6]
	v_fma_f64 v[9:10], -v[7:8], v[7:8], v[3:4]
	v_fma_f64 v[7:8], v[9:10], v[5:6], v[7:8]
	v_fma_f64 v[9:10], -v[7:8], v[7:8], v[3:4]
	v_fma_f64 v[5:6], v[9:10], v[5:6], v[7:8]
	v_mov_b32_e32 v7, 0xffffff80
	v_mov_b32_e32 v8, 0x260
	v_cndmask_b32_e32 v7, 0, v7, vcc
	v_cmp_class_f64_e32 vcc, v[3:4], v8
	v_ldexp_f64 v[5:6], v[5:6], v7
	v_cndmask_b32_e32 v4, v6, v4, vcc
	v_cndmask_b32_e32 v3, v5, v3, vcc
	v_div_scale_f64 v[5:6], s[16:17], v[3:4], v[3:4], 1.0
	v_div_scale_f64 v[11:12], vcc, 1.0, v[3:4], 1.0
	v_rcp_f64_e32 v[7:8], v[5:6]
	v_fma_f64 v[9:10], -v[5:6], v[7:8], 1.0
	v_fma_f64 v[7:8], v[7:8], v[9:10], v[7:8]
	v_fma_f64 v[9:10], -v[5:6], v[7:8], 1.0
	v_fma_f64 v[7:8], v[7:8], v[9:10], v[7:8]
	v_mul_f64 v[9:10], v[11:12], v[7:8]
	v_fma_f64 v[5:6], -v[5:6], v[9:10], v[11:12]
	v_div_fmas_f64 v[5:6], v[5:6], v[7:8], v[9:10]
	v_div_fixup_f64 v[3:4], v[5:6], v[3:4], 1.0
	v_add_f64 v[3:4], s[2:3], v[3:4]
.LBB1_2:
	s_or_b64 exec, exec, s[10:11]
	s_cmp_lg_u64 s[12:13], 0
	s_cbranch_scc1 .LBB1_17
; %bb.3:
	s_load_dwordx2 s[10:11], s[4:5], 0x68
	s_add_u32 s1, s4, 0x68
	v_mov_b32_e32 v5, 0
	s_addc_u32 s7, s5, 0
	global_load_dword v6, v5, s[4:5] offset:118
	s_waitcnt lgkmcnt(0)
	s_cmp_lt_u32 s6, s10
	s_cselect_b32 s4, 12, 18
	s_add_u32 s4, s1, s4
	s_addc_u32 s5, s7, 0
	global_load_ushort v5, v5, s[4:5]
	v_mbcnt_lo_u32_b32 v9, -1, 0
	v_mbcnt_hi_u32_b32 v9, -1, v9
	s_waitcnt vmcnt(1)
	v_readfirstlane_b32 s1, v6
	s_lshr_b32 s4, s1, 16
	s_and_b32 s1, s1, 0xffff
	s_waitcnt vmcnt(0)
	v_readfirstlane_b32 s5, v5
	s_mul_i32 s1, s1, s5
	v_mul_lo_u32 v8, s1, v2
	v_mad_u32_u24 v7, v1, v5, v0
	s_mul_i32 s4, s1, s4
	s_ashr_i32 s5, s4, 31
	s_and_b32 s1, s4, 63
	v_add_u32_e32 v2, v8, v7
	s_cmp_eq_u32 s1, 0
	v_ashrrev_i32_e32 v1, 31, v2
	s_cbranch_scc1 .LBB1_18
; %bb.4:
	v_and_b32_e32 v0, 64, v9
	v_xor_b32_e32 v10, 1, v2
	v_and_or_b32 v5, v10, 63, v0
	v_lshlrev_b32_e32 v6, 2, v5
	ds_bpermute_b32 v5, v6, v3
	ds_bpermute_b32 v6, v6, v4
	v_xor_b32_e32 v12, 2, v2
	v_and_or_b32 v11, v12, 63, v0
	v_cmp_gt_i32_e32 vcc, s4, v10
	v_lshlrev_b32_e32 v11, 2, v11
	s_waitcnt lgkmcnt(0)
	v_add_f64 v[5:6], v[3:4], v[5:6]
	v_xor_b32_e32 v13, 4, v2
	v_and_or_b32 v14, v13, 63, v0
	v_lshlrev_b32_e32 v14, 2, v14
	v_cndmask_b32_e32 v6, v4, v6, vcc
	v_cndmask_b32_e32 v5, v3, v5, vcc
	ds_bpermute_b32 v10, v11, v5
	ds_bpermute_b32 v11, v11, v6
	v_cmp_gt_i32_e32 vcc, s4, v12
	v_xor_b32_e32 v12, 8, v2
	s_waitcnt lgkmcnt(0)
	v_add_f64 v[10:11], v[5:6], v[10:11]
	v_cndmask_b32_e32 v6, v6, v11, vcc
	v_cndmask_b32_e32 v5, v5, v10, vcc
	ds_bpermute_b32 v10, v14, v5
	ds_bpermute_b32 v11, v14, v6
	v_and_or_b32 v14, v12, 63, v0
	v_cmp_gt_i32_e32 vcc, s4, v13
	v_lshlrev_b32_e32 v14, 2, v14
	v_xor_b32_e32 v13, 16, v2
	s_waitcnt lgkmcnt(0)
	v_add_f64 v[10:11], v[5:6], v[10:11]
	v_cndmask_b32_e32 v6, v6, v11, vcc
	v_cndmask_b32_e32 v5, v5, v10, vcc
	ds_bpermute_b32 v10, v14, v5
	ds_bpermute_b32 v11, v14, v6
	v_and_or_b32 v14, v13, 63, v0
	v_cmp_gt_i32_e32 vcc, s4, v12
	v_lshlrev_b32_e32 v14, 2, v14
	v_xor_b32_e32 v12, 32, v2
	s_waitcnt lgkmcnt(0)
	v_add_f64 v[10:11], v[5:6], v[10:11]
	v_and_or_b32 v0, v12, 63, v0
	v_lshlrev_b32_e32 v0, 2, v0
	v_cndmask_b32_e32 v6, v6, v11, vcc
	v_cndmask_b32_e32 v5, v5, v10, vcc
	ds_bpermute_b32 v10, v14, v5
	ds_bpermute_b32 v11, v14, v6
	v_cmp_gt_i32_e32 vcc, s4, v13
	s_waitcnt lgkmcnt(0)
	v_add_f64 v[10:11], v[5:6], v[10:11]
	v_cndmask_b32_e32 v6, v6, v11, vcc
	v_cndmask_b32_e32 v5, v5, v10, vcc
	ds_bpermute_b32 v10, v0, v5
	ds_bpermute_b32 v11, v0, v6
	v_cmp_gt_i32_e32 vcc, s4, v12
	s_waitcnt lgkmcnt(0)
	v_add_f64 v[10:11], v[5:6], v[10:11]
	v_cndmask_b32_e32 v6, v6, v11, vcc
	v_cndmask_b32_e32 v5, v5, v10, vcc
	s_cbranch_execnz .LBB1_6
.LBB1_5:
	v_and_b32_e32 v0, 64, v9
	v_add_u32_e32 v0, 64, v0
	v_xor_b32_e32 v5, 1, v9
	v_cmp_lt_i32_e32 vcc, v5, v0
	v_cndmask_b32_e32 v5, v9, v5, vcc
	v_lshlrev_b32_e32 v6, 2, v5
	ds_bpermute_b32 v5, v6, v3
	ds_bpermute_b32 v6, v6, v4
	s_waitcnt lgkmcnt(0)
	v_add_f64 v[3:4], v[3:4], v[5:6]
	v_xor_b32_e32 v5, 2, v9
	v_cmp_lt_i32_e32 vcc, v5, v0
	v_cndmask_b32_e32 v5, v9, v5, vcc
	v_lshlrev_b32_e32 v6, 2, v5
	ds_bpermute_b32 v5, v6, v3
	ds_bpermute_b32 v6, v6, v4
	s_waitcnt lgkmcnt(0)
	v_add_f64 v[3:4], v[3:4], v[5:6]
	;; [unrolled: 8-line block ×6, first 2 shown]
.LBB1_6:
	s_cmpk_lt_i32 s4, 0x41
	s_cbranch_scc1 .LBB1_14
; %bb.7:
	v_lshrrev_b32_e32 v0, 26, v1
	v_add_u32_e32 v3, v2, v0
	v_and_b32_e32 v0, 0xffffffc0, v3
	v_sub_u32_e32 v0, v2, v0
	v_cmp_eq_u32_e32 vcc, 0, v0
	s_and_saveexec_b64 s[12:13], vcc
; %bb.8:
	v_ashrrev_i32_e32 v3, 6, v3
	v_lshlrev_b32_e32 v3, 3, v3
	ds_write_b64 v3, v[5:6]
; %bb.9:
	s_or_b64 exec, exec, s[12:13]
	v_add_co_u32_e32 v2, vcc, 63, v2
	v_addc_co_u32_e32 v3, vcc, 0, v1, vcc
	s_mov_b64 s[12:13], 0x7f
	v_cmp_gt_u64_e32 vcc, s[12:13], v[2:3]
	s_waitcnt lgkmcnt(0)
	s_barrier
	s_and_saveexec_b64 s[12:13], vcc
	s_cbranch_execz .LBB1_13
; %bb.10:
	v_ashrrev_i32_e32 v1, 31, v0
	v_lshlrev_b64 v[1:2], 6, v[0:1]
	v_cmp_gt_i64_e32 vcc, s[4:5], v[1:2]
	v_mov_b32_e32 v1, s2
	v_mov_b32_e32 v2, s3
	s_and_saveexec_b64 s[4:5], vcc
; %bb.11:
	v_lshlrev_b32_e32 v0, 3, v0
	ds_read_b64 v[1:2], v0
; %bb.12:
	s_or_b64 exec, exec, s[4:5]
	v_and_b32_e32 v0, 64, v9
	v_add_u32_e32 v5, 64, v0
	v_xor_b32_e32 v0, 1, v9
	v_cmp_lt_i32_e32 vcc, v0, v5
	v_cndmask_b32_e32 v0, v9, v0, vcc
	v_lshlrev_b32_e32 v0, 2, v0
	s_waitcnt lgkmcnt(0)
	ds_bpermute_b32 v3, v0, v1
	ds_bpermute_b32 v4, v0, v2
	s_waitcnt lgkmcnt(0)
	v_add_f64 v[0:1], v[1:2], v[3:4]
	v_xor_b32_e32 v2, 2, v9
	v_cmp_lt_i32_e32 vcc, v2, v5
	v_cndmask_b32_e32 v2, v9, v2, vcc
	v_lshlrev_b32_e32 v3, 2, v2
	ds_bpermute_b32 v2, v3, v0
	ds_bpermute_b32 v3, v3, v1
	s_waitcnt lgkmcnt(0)
	v_add_f64 v[0:1], v[0:1], v[2:3]
	v_xor_b32_e32 v2, 4, v9
	v_cmp_lt_i32_e32 vcc, v2, v5
	v_cndmask_b32_e32 v2, v9, v2, vcc
	v_lshlrev_b32_e32 v3, 2, v2
	;; [unrolled: 8-line block ×3, first 2 shown]
	ds_bpermute_b32 v2, v3, v0
	ds_bpermute_b32 v3, v3, v1
	s_waitcnt lgkmcnt(0)
	v_add_f64 v[5:6], v[0:1], v[2:3]
.LBB1_13:
	s_or_b64 exec, exec, s[12:13]
	s_barrier
.LBB1_14:
	v_cmp_neq_f64_e32 vcc, s[2:3], v[5:6]
	v_sub_u32_e32 v0, 0, v8
	v_cmp_eq_u32_e64 s[2:3], v7, v0
	s_and_b64 s[2:3], s[2:3], vcc
	s_and_saveexec_b64 s[4:5], s[2:3]
	s_cbranch_execz .LBB1_17
; %bb.15:
	s_mul_i32 s1, s11, s8
	s_add_i32 s0, s1, s0
	s_mul_i32 s0, s0, s10
	s_add_i32 s0, s0, s6
	s_ashr_i32 s1, s0, 31
	s_lshr_b32 s1, s1, 27
	s_add_i32 s1, s0, s1
	s_and_b32 s1, s1, 0x1fffffe0
	s_sub_i32 s0, s0, s1
	s_lshl_b32 s0, s0, 3
	s_ashr_i32 s1, s0, 31
	s_lshl_b64 s[0:1], s[0:1], 3
	s_add_u32 s0, s14, s0
	s_addc_u32 s1, s15, s1
	v_mov_b32_e32 v8, s1
	v_mov_b32_e32 v7, s0
	flat_load_dwordx2 v[2:3], v[7:8]
	s_mov_b64 s[0:1], 0
.LBB1_16:                               ; =>This Inner Loop Header: Depth=1
	s_waitcnt vmcnt(0) lgkmcnt(0)
	v_add_f64 v[0:1], v[2:3], v[5:6]
	flat_atomic_cmpswap_x2 v[0:1], v[7:8], v[0:3] glc
	s_waitcnt vmcnt(0) lgkmcnt(0)
	v_cmp_eq_u64_e32 vcc, v[0:1], v[2:3]
	v_mov_b32_e32 v3, v1
	s_or_b64 s[0:1], vcc, s[0:1]
	v_mov_b32_e32 v2, v0
	s_andn2_b64 exec, exec, s[0:1]
	s_cbranch_execnz .LBB1_16
.LBB1_17:
	s_endpgm
.LBB1_18:
                                        ; implicit-def: $vgpr5_vgpr6
	s_branch .LBB1_5
	.section	.rodata,"a",@progbits
	.p2align	6, 0x0
	.amdhsa_kernel _ZN4RAJA6policy3hip4impl18forallp_hip_kernelINS1_8hip_execINS_17iteration_mapping6DirectENS_3hip11IndexGlobalILNS_9named_dimE0ELi256ELi0EEENS7_40AvoidDeviceMaxThreadOccupancyConcretizerINS7_34FractionOffsetOccupancyConcretizerINS_8FractionImLm1ELm1EEELln1EEEEELb1EEENS_9Iterators16numeric_iteratorIllPlEEZN8rajaperf5basic8TRAP_INT17runHipVariantRAJAILm256ENSM_13gpu_algorithm19block_atomic_helperENSM_11gpu_mapping20global_direct_helperEEEvNSM_9VariantIDEEUllE_lNS_4expt15ForallParamPackIJEEES6_SA_TnNSt9enable_ifIXaasr3std10is_base_ofINS5_10DirectBaseET4_EE5valuegtsrT5_10block_sizeLi0EEmE4typeELm256EEEvT1_T0_T2_T3_
		.amdhsa_group_segment_fixed_size 128
		.amdhsa_private_segment_fixed_size 0
		.amdhsa_kernarg_size 360
		.amdhsa_user_sgpr_count 6
		.amdhsa_user_sgpr_private_segment_buffer 1
		.amdhsa_user_sgpr_dispatch_ptr 0
		.amdhsa_user_sgpr_queue_ptr 0
		.amdhsa_user_sgpr_kernarg_segment_ptr 1
		.amdhsa_user_sgpr_dispatch_id 0
		.amdhsa_user_sgpr_flat_scratch_init 0
		.amdhsa_user_sgpr_private_segment_size 0
		.amdhsa_uses_dynamic_stack 0
		.amdhsa_system_sgpr_private_segment_wavefront_offset 0
		.amdhsa_system_sgpr_workgroup_id_x 1
		.amdhsa_system_sgpr_workgroup_id_y 1
		.amdhsa_system_sgpr_workgroup_id_z 1
		.amdhsa_system_sgpr_workgroup_info 0
		.amdhsa_system_vgpr_workitem_id 2
		.amdhsa_next_free_vgpr 15
		.amdhsa_next_free_sgpr 24
		.amdhsa_reserve_vcc 1
		.amdhsa_reserve_flat_scratch 0
		.amdhsa_float_round_mode_32 0
		.amdhsa_float_round_mode_16_64 0
		.amdhsa_float_denorm_mode_32 3
		.amdhsa_float_denorm_mode_16_64 3
		.amdhsa_dx10_clamp 1
		.amdhsa_ieee_mode 1
		.amdhsa_fp16_overflow 0
		.amdhsa_exception_fp_ieee_invalid_op 0
		.amdhsa_exception_fp_denorm_src 0
		.amdhsa_exception_fp_ieee_div_zero 0
		.amdhsa_exception_fp_ieee_overflow 0
		.amdhsa_exception_fp_ieee_underflow 0
		.amdhsa_exception_fp_ieee_inexact 0
		.amdhsa_exception_int_div_zero 0
	.end_amdhsa_kernel
	.section	.text._ZN4RAJA6policy3hip4impl18forallp_hip_kernelINS1_8hip_execINS_17iteration_mapping6DirectENS_3hip11IndexGlobalILNS_9named_dimE0ELi256ELi0EEENS7_40AvoidDeviceMaxThreadOccupancyConcretizerINS7_34FractionOffsetOccupancyConcretizerINS_8FractionImLm1ELm1EEELln1EEEEELb1EEENS_9Iterators16numeric_iteratorIllPlEEZN8rajaperf5basic8TRAP_INT17runHipVariantRAJAILm256ENSM_13gpu_algorithm19block_atomic_helperENSM_11gpu_mapping20global_direct_helperEEEvNSM_9VariantIDEEUllE_lNS_4expt15ForallParamPackIJEEES6_SA_TnNSt9enable_ifIXaasr3std10is_base_ofINS5_10DirectBaseET4_EE5valuegtsrT5_10block_sizeLi0EEmE4typeELm256EEEvT1_T0_T2_T3_,"axG",@progbits,_ZN4RAJA6policy3hip4impl18forallp_hip_kernelINS1_8hip_execINS_17iteration_mapping6DirectENS_3hip11IndexGlobalILNS_9named_dimE0ELi256ELi0EEENS7_40AvoidDeviceMaxThreadOccupancyConcretizerINS7_34FractionOffsetOccupancyConcretizerINS_8FractionImLm1ELm1EEELln1EEEEELb1EEENS_9Iterators16numeric_iteratorIllPlEEZN8rajaperf5basic8TRAP_INT17runHipVariantRAJAILm256ENSM_13gpu_algorithm19block_atomic_helperENSM_11gpu_mapping20global_direct_helperEEEvNSM_9VariantIDEEUllE_lNS_4expt15ForallParamPackIJEEES6_SA_TnNSt9enable_ifIXaasr3std10is_base_ofINS5_10DirectBaseET4_EE5valuegtsrT5_10block_sizeLi0EEmE4typeELm256EEEvT1_T0_T2_T3_,comdat
.Lfunc_end1:
	.size	_ZN4RAJA6policy3hip4impl18forallp_hip_kernelINS1_8hip_execINS_17iteration_mapping6DirectENS_3hip11IndexGlobalILNS_9named_dimE0ELi256ELi0EEENS7_40AvoidDeviceMaxThreadOccupancyConcretizerINS7_34FractionOffsetOccupancyConcretizerINS_8FractionImLm1ELm1EEELln1EEEEELb1EEENS_9Iterators16numeric_iteratorIllPlEEZN8rajaperf5basic8TRAP_INT17runHipVariantRAJAILm256ENSM_13gpu_algorithm19block_atomic_helperENSM_11gpu_mapping20global_direct_helperEEEvNSM_9VariantIDEEUllE_lNS_4expt15ForallParamPackIJEEES6_SA_TnNSt9enable_ifIXaasr3std10is_base_ofINS5_10DirectBaseET4_EE5valuegtsrT5_10block_sizeLi0EEmE4typeELm256EEEvT1_T0_T2_T3_, .Lfunc_end1-_ZN4RAJA6policy3hip4impl18forallp_hip_kernelINS1_8hip_execINS_17iteration_mapping6DirectENS_3hip11IndexGlobalILNS_9named_dimE0ELi256ELi0EEENS7_40AvoidDeviceMaxThreadOccupancyConcretizerINS7_34FractionOffsetOccupancyConcretizerINS_8FractionImLm1ELm1EEELln1EEEEELb1EEENS_9Iterators16numeric_iteratorIllPlEEZN8rajaperf5basic8TRAP_INT17runHipVariantRAJAILm256ENSM_13gpu_algorithm19block_atomic_helperENSM_11gpu_mapping20global_direct_helperEEEvNSM_9VariantIDEEUllE_lNS_4expt15ForallParamPackIJEEES6_SA_TnNSt9enable_ifIXaasr3std10is_base_ofINS5_10DirectBaseET4_EE5valuegtsrT5_10block_sizeLi0EEmE4typeELm256EEEvT1_T0_T2_T3_
                                        ; -- End function
	.set _ZN4RAJA6policy3hip4impl18forallp_hip_kernelINS1_8hip_execINS_17iteration_mapping6DirectENS_3hip11IndexGlobalILNS_9named_dimE0ELi256ELi0EEENS7_40AvoidDeviceMaxThreadOccupancyConcretizerINS7_34FractionOffsetOccupancyConcretizerINS_8FractionImLm1ELm1EEELln1EEEEELb1EEENS_9Iterators16numeric_iteratorIllPlEEZN8rajaperf5basic8TRAP_INT17runHipVariantRAJAILm256ENSM_13gpu_algorithm19block_atomic_helperENSM_11gpu_mapping20global_direct_helperEEEvNSM_9VariantIDEEUllE_lNS_4expt15ForallParamPackIJEEES6_SA_TnNSt9enable_ifIXaasr3std10is_base_ofINS5_10DirectBaseET4_EE5valuegtsrT5_10block_sizeLi0EEmE4typeELm256EEEvT1_T0_T2_T3_.num_vgpr, 15
	.set _ZN4RAJA6policy3hip4impl18forallp_hip_kernelINS1_8hip_execINS_17iteration_mapping6DirectENS_3hip11IndexGlobalILNS_9named_dimE0ELi256ELi0EEENS7_40AvoidDeviceMaxThreadOccupancyConcretizerINS7_34FractionOffsetOccupancyConcretizerINS_8FractionImLm1ELm1EEELln1EEEEELb1EEENS_9Iterators16numeric_iteratorIllPlEEZN8rajaperf5basic8TRAP_INT17runHipVariantRAJAILm256ENSM_13gpu_algorithm19block_atomic_helperENSM_11gpu_mapping20global_direct_helperEEEvNSM_9VariantIDEEUllE_lNS_4expt15ForallParamPackIJEEES6_SA_TnNSt9enable_ifIXaasr3std10is_base_ofINS5_10DirectBaseET4_EE5valuegtsrT5_10block_sizeLi0EEmE4typeELm256EEEvT1_T0_T2_T3_.num_agpr, 0
	.set _ZN4RAJA6policy3hip4impl18forallp_hip_kernelINS1_8hip_execINS_17iteration_mapping6DirectENS_3hip11IndexGlobalILNS_9named_dimE0ELi256ELi0EEENS7_40AvoidDeviceMaxThreadOccupancyConcretizerINS7_34FractionOffsetOccupancyConcretizerINS_8FractionImLm1ELm1EEELln1EEEEELb1EEENS_9Iterators16numeric_iteratorIllPlEEZN8rajaperf5basic8TRAP_INT17runHipVariantRAJAILm256ENSM_13gpu_algorithm19block_atomic_helperENSM_11gpu_mapping20global_direct_helperEEEvNSM_9VariantIDEEUllE_lNS_4expt15ForallParamPackIJEEES6_SA_TnNSt9enable_ifIXaasr3std10is_base_ofINS5_10DirectBaseET4_EE5valuegtsrT5_10block_sizeLi0EEmE4typeELm256EEEvT1_T0_T2_T3_.numbered_sgpr, 24
	.set _ZN4RAJA6policy3hip4impl18forallp_hip_kernelINS1_8hip_execINS_17iteration_mapping6DirectENS_3hip11IndexGlobalILNS_9named_dimE0ELi256ELi0EEENS7_40AvoidDeviceMaxThreadOccupancyConcretizerINS7_34FractionOffsetOccupancyConcretizerINS_8FractionImLm1ELm1EEELln1EEEEELb1EEENS_9Iterators16numeric_iteratorIllPlEEZN8rajaperf5basic8TRAP_INT17runHipVariantRAJAILm256ENSM_13gpu_algorithm19block_atomic_helperENSM_11gpu_mapping20global_direct_helperEEEvNSM_9VariantIDEEUllE_lNS_4expt15ForallParamPackIJEEES6_SA_TnNSt9enable_ifIXaasr3std10is_base_ofINS5_10DirectBaseET4_EE5valuegtsrT5_10block_sizeLi0EEmE4typeELm256EEEvT1_T0_T2_T3_.num_named_barrier, 0
	.set _ZN4RAJA6policy3hip4impl18forallp_hip_kernelINS1_8hip_execINS_17iteration_mapping6DirectENS_3hip11IndexGlobalILNS_9named_dimE0ELi256ELi0EEENS7_40AvoidDeviceMaxThreadOccupancyConcretizerINS7_34FractionOffsetOccupancyConcretizerINS_8FractionImLm1ELm1EEELln1EEEEELb1EEENS_9Iterators16numeric_iteratorIllPlEEZN8rajaperf5basic8TRAP_INT17runHipVariantRAJAILm256ENSM_13gpu_algorithm19block_atomic_helperENSM_11gpu_mapping20global_direct_helperEEEvNSM_9VariantIDEEUllE_lNS_4expt15ForallParamPackIJEEES6_SA_TnNSt9enable_ifIXaasr3std10is_base_ofINS5_10DirectBaseET4_EE5valuegtsrT5_10block_sizeLi0EEmE4typeELm256EEEvT1_T0_T2_T3_.private_seg_size, 0
	.set _ZN4RAJA6policy3hip4impl18forallp_hip_kernelINS1_8hip_execINS_17iteration_mapping6DirectENS_3hip11IndexGlobalILNS_9named_dimE0ELi256ELi0EEENS7_40AvoidDeviceMaxThreadOccupancyConcretizerINS7_34FractionOffsetOccupancyConcretizerINS_8FractionImLm1ELm1EEELln1EEEEELb1EEENS_9Iterators16numeric_iteratorIllPlEEZN8rajaperf5basic8TRAP_INT17runHipVariantRAJAILm256ENSM_13gpu_algorithm19block_atomic_helperENSM_11gpu_mapping20global_direct_helperEEEvNSM_9VariantIDEEUllE_lNS_4expt15ForallParamPackIJEEES6_SA_TnNSt9enable_ifIXaasr3std10is_base_ofINS5_10DirectBaseET4_EE5valuegtsrT5_10block_sizeLi0EEmE4typeELm256EEEvT1_T0_T2_T3_.uses_vcc, 1
	.set _ZN4RAJA6policy3hip4impl18forallp_hip_kernelINS1_8hip_execINS_17iteration_mapping6DirectENS_3hip11IndexGlobalILNS_9named_dimE0ELi256ELi0EEENS7_40AvoidDeviceMaxThreadOccupancyConcretizerINS7_34FractionOffsetOccupancyConcretizerINS_8FractionImLm1ELm1EEELln1EEEEELb1EEENS_9Iterators16numeric_iteratorIllPlEEZN8rajaperf5basic8TRAP_INT17runHipVariantRAJAILm256ENSM_13gpu_algorithm19block_atomic_helperENSM_11gpu_mapping20global_direct_helperEEEvNSM_9VariantIDEEUllE_lNS_4expt15ForallParamPackIJEEES6_SA_TnNSt9enable_ifIXaasr3std10is_base_ofINS5_10DirectBaseET4_EE5valuegtsrT5_10block_sizeLi0EEmE4typeELm256EEEvT1_T0_T2_T3_.uses_flat_scratch, 0
	.set _ZN4RAJA6policy3hip4impl18forallp_hip_kernelINS1_8hip_execINS_17iteration_mapping6DirectENS_3hip11IndexGlobalILNS_9named_dimE0ELi256ELi0EEENS7_40AvoidDeviceMaxThreadOccupancyConcretizerINS7_34FractionOffsetOccupancyConcretizerINS_8FractionImLm1ELm1EEELln1EEEEELb1EEENS_9Iterators16numeric_iteratorIllPlEEZN8rajaperf5basic8TRAP_INT17runHipVariantRAJAILm256ENSM_13gpu_algorithm19block_atomic_helperENSM_11gpu_mapping20global_direct_helperEEEvNSM_9VariantIDEEUllE_lNS_4expt15ForallParamPackIJEEES6_SA_TnNSt9enable_ifIXaasr3std10is_base_ofINS5_10DirectBaseET4_EE5valuegtsrT5_10block_sizeLi0EEmE4typeELm256EEEvT1_T0_T2_T3_.has_dyn_sized_stack, 0
	.set _ZN4RAJA6policy3hip4impl18forallp_hip_kernelINS1_8hip_execINS_17iteration_mapping6DirectENS_3hip11IndexGlobalILNS_9named_dimE0ELi256ELi0EEENS7_40AvoidDeviceMaxThreadOccupancyConcretizerINS7_34FractionOffsetOccupancyConcretizerINS_8FractionImLm1ELm1EEELln1EEEEELb1EEENS_9Iterators16numeric_iteratorIllPlEEZN8rajaperf5basic8TRAP_INT17runHipVariantRAJAILm256ENSM_13gpu_algorithm19block_atomic_helperENSM_11gpu_mapping20global_direct_helperEEEvNSM_9VariantIDEEUllE_lNS_4expt15ForallParamPackIJEEES6_SA_TnNSt9enable_ifIXaasr3std10is_base_ofINS5_10DirectBaseET4_EE5valuegtsrT5_10block_sizeLi0EEmE4typeELm256EEEvT1_T0_T2_T3_.has_recursion, 0
	.set _ZN4RAJA6policy3hip4impl18forallp_hip_kernelINS1_8hip_execINS_17iteration_mapping6DirectENS_3hip11IndexGlobalILNS_9named_dimE0ELi256ELi0EEENS7_40AvoidDeviceMaxThreadOccupancyConcretizerINS7_34FractionOffsetOccupancyConcretizerINS_8FractionImLm1ELm1EEELln1EEEEELb1EEENS_9Iterators16numeric_iteratorIllPlEEZN8rajaperf5basic8TRAP_INT17runHipVariantRAJAILm256ENSM_13gpu_algorithm19block_atomic_helperENSM_11gpu_mapping20global_direct_helperEEEvNSM_9VariantIDEEUllE_lNS_4expt15ForallParamPackIJEEES6_SA_TnNSt9enable_ifIXaasr3std10is_base_ofINS5_10DirectBaseET4_EE5valuegtsrT5_10block_sizeLi0EEmE4typeELm256EEEvT1_T0_T2_T3_.has_indirect_call, 0
	.section	.AMDGPU.csdata,"",@progbits
; Kernel info:
; codeLenInByte = 1708
; TotalNumSgprs: 28
; NumVgprs: 15
; ScratchSize: 0
; MemoryBound: 0
; FloatMode: 240
; IeeeMode: 1
; LDSByteSize: 128 bytes/workgroup (compile time only)
; SGPRBlocks: 3
; VGPRBlocks: 3
; NumSGPRsForWavesPerEU: 28
; NumVGPRsForWavesPerEU: 15
; Occupancy: 10
; WaveLimiterHint : 0
; COMPUTE_PGM_RSRC2:SCRATCH_EN: 0
; COMPUTE_PGM_RSRC2:USER_SGPR: 6
; COMPUTE_PGM_RSRC2:TRAP_HANDLER: 0
; COMPUTE_PGM_RSRC2:TGID_X_EN: 1
; COMPUTE_PGM_RSRC2:TGID_Y_EN: 1
; COMPUTE_PGM_RSRC2:TGID_Z_EN: 1
; COMPUTE_PGM_RSRC2:TIDIG_COMP_CNT: 2
	.section	.text._ZN4RAJA6policy3hip4impl18forallp_hip_kernelINS1_8hip_execINS_17iteration_mapping6DirectENS_3hip11IndexGlobalILNS_9named_dimE0ELi256ELi0EEENS7_40AvoidDeviceMaxThreadOccupancyConcretizerINS7_34FractionOffsetOccupancyConcretizerINS_8FractionImLm1ELm1EEELln1EEEEELb1EEENS_9Iterators16numeric_iteratorIllPlEEZN8rajaperf5basic8TRAP_INT17runHipVariantRAJAILm256ENSM_13gpu_algorithm19block_device_helperENSM_11gpu_mapping20global_direct_helperEEEvNSM_9VariantIDEEUllE_lNS_4expt15ForallParamPackIJEEES6_SA_TnNSt9enable_ifIXaasr3std10is_base_ofINS5_10DirectBaseET4_EE5valuegtsrT5_10block_sizeLi0EEmE4typeELm256EEEvT1_T0_T2_T3_,"axG",@progbits,_ZN4RAJA6policy3hip4impl18forallp_hip_kernelINS1_8hip_execINS_17iteration_mapping6DirectENS_3hip11IndexGlobalILNS_9named_dimE0ELi256ELi0EEENS7_40AvoidDeviceMaxThreadOccupancyConcretizerINS7_34FractionOffsetOccupancyConcretizerINS_8FractionImLm1ELm1EEELln1EEEEELb1EEENS_9Iterators16numeric_iteratorIllPlEEZN8rajaperf5basic8TRAP_INT17runHipVariantRAJAILm256ENSM_13gpu_algorithm19block_device_helperENSM_11gpu_mapping20global_direct_helperEEEvNSM_9VariantIDEEUllE_lNS_4expt15ForallParamPackIJEEES6_SA_TnNSt9enable_ifIXaasr3std10is_base_ofINS5_10DirectBaseET4_EE5valuegtsrT5_10block_sizeLi0EEmE4typeELm256EEEvT1_T0_T2_T3_,comdat
	.protected	_ZN4RAJA6policy3hip4impl18forallp_hip_kernelINS1_8hip_execINS_17iteration_mapping6DirectENS_3hip11IndexGlobalILNS_9named_dimE0ELi256ELi0EEENS7_40AvoidDeviceMaxThreadOccupancyConcretizerINS7_34FractionOffsetOccupancyConcretizerINS_8FractionImLm1ELm1EEELln1EEEEELb1EEENS_9Iterators16numeric_iteratorIllPlEEZN8rajaperf5basic8TRAP_INT17runHipVariantRAJAILm256ENSM_13gpu_algorithm19block_device_helperENSM_11gpu_mapping20global_direct_helperEEEvNSM_9VariantIDEEUllE_lNS_4expt15ForallParamPackIJEEES6_SA_TnNSt9enable_ifIXaasr3std10is_base_ofINS5_10DirectBaseET4_EE5valuegtsrT5_10block_sizeLi0EEmE4typeELm256EEEvT1_T0_T2_T3_ ; -- Begin function _ZN4RAJA6policy3hip4impl18forallp_hip_kernelINS1_8hip_execINS_17iteration_mapping6DirectENS_3hip11IndexGlobalILNS_9named_dimE0ELi256ELi0EEENS7_40AvoidDeviceMaxThreadOccupancyConcretizerINS7_34FractionOffsetOccupancyConcretizerINS_8FractionImLm1ELm1EEELln1EEEEELb1EEENS_9Iterators16numeric_iteratorIllPlEEZN8rajaperf5basic8TRAP_INT17runHipVariantRAJAILm256ENSM_13gpu_algorithm19block_device_helperENSM_11gpu_mapping20global_direct_helperEEEvNSM_9VariantIDEEUllE_lNS_4expt15ForallParamPackIJEEES6_SA_TnNSt9enable_ifIXaasr3std10is_base_ofINS5_10DirectBaseET4_EE5valuegtsrT5_10block_sizeLi0EEmE4typeELm256EEEvT1_T0_T2_T3_
	.globl	_ZN4RAJA6policy3hip4impl18forallp_hip_kernelINS1_8hip_execINS_17iteration_mapping6DirectENS_3hip11IndexGlobalILNS_9named_dimE0ELi256ELi0EEENS7_40AvoidDeviceMaxThreadOccupancyConcretizerINS7_34FractionOffsetOccupancyConcretizerINS_8FractionImLm1ELm1EEELln1EEEEELb1EEENS_9Iterators16numeric_iteratorIllPlEEZN8rajaperf5basic8TRAP_INT17runHipVariantRAJAILm256ENSM_13gpu_algorithm19block_device_helperENSM_11gpu_mapping20global_direct_helperEEEvNSM_9VariantIDEEUllE_lNS_4expt15ForallParamPackIJEEES6_SA_TnNSt9enable_ifIXaasr3std10is_base_ofINS5_10DirectBaseET4_EE5valuegtsrT5_10block_sizeLi0EEmE4typeELm256EEEvT1_T0_T2_T3_
	.p2align	8
	.type	_ZN4RAJA6policy3hip4impl18forallp_hip_kernelINS1_8hip_execINS_17iteration_mapping6DirectENS_3hip11IndexGlobalILNS_9named_dimE0ELi256ELi0EEENS7_40AvoidDeviceMaxThreadOccupancyConcretizerINS7_34FractionOffsetOccupancyConcretizerINS_8FractionImLm1ELm1EEELln1EEEEELb1EEENS_9Iterators16numeric_iteratorIllPlEEZN8rajaperf5basic8TRAP_INT17runHipVariantRAJAILm256ENSM_13gpu_algorithm19block_device_helperENSM_11gpu_mapping20global_direct_helperEEEvNSM_9VariantIDEEUllE_lNS_4expt15ForallParamPackIJEEES6_SA_TnNSt9enable_ifIXaasr3std10is_base_ofINS5_10DirectBaseET4_EE5valuegtsrT5_10block_sizeLi0EEmE4typeELm256EEEvT1_T0_T2_T3_,@function
_ZN4RAJA6policy3hip4impl18forallp_hip_kernelINS1_8hip_execINS_17iteration_mapping6DirectENS_3hip11IndexGlobalILNS_9named_dimE0ELi256ELi0EEENS7_40AvoidDeviceMaxThreadOccupancyConcretizerINS7_34FractionOffsetOccupancyConcretizerINS_8FractionImLm1ELm1EEELln1EEEEELb1EEENS_9Iterators16numeric_iteratorIllPlEEZN8rajaperf5basic8TRAP_INT17runHipVariantRAJAILm256ENSM_13gpu_algorithm19block_device_helperENSM_11gpu_mapping20global_direct_helperEEEvNSM_9VariantIDEEUllE_lNS_4expt15ForallParamPackIJEEES6_SA_TnNSt9enable_ifIXaasr3std10is_base_ofINS5_10DirectBaseET4_EE5valuegtsrT5_10block_sizeLi0EEmE4typeELm256EEEvT1_T0_T2_T3_: ; @_ZN4RAJA6policy3hip4impl18forallp_hip_kernelINS1_8hip_execINS_17iteration_mapping6DirectENS_3hip11IndexGlobalILNS_9named_dimE0ELi256ELi0EEENS7_40AvoidDeviceMaxThreadOccupancyConcretizerINS7_34FractionOffsetOccupancyConcretizerINS_8FractionImLm1ELm1EEELln1EEEEELb1EEENS_9Iterators16numeric_iteratorIllPlEEZN8rajaperf5basic8TRAP_INT17runHipVariantRAJAILm256ENSM_13gpu_algorithm19block_device_helperENSM_11gpu_mapping20global_direct_helperEEEvNSM_9VariantIDEEUllE_lNS_4expt15ForallParamPackIJEEES6_SA_TnNSt9enable_ifIXaasr3std10is_base_ofINS5_10DirectBaseET4_EE5valuegtsrT5_10block_sizeLi0EEmE4typeELm256EEEvT1_T0_T2_T3_
; %bb.0:
	s_load_dwordx4 s[20:23], s[4:5], 0x60
	s_load_dwordx4 s[12:15], s[4:5], 0x10
	;; [unrolled: 1-line block ×3, first 2 shown]
	s_mov_b32 s0, s7
	s_mov_b32 s7, 0
	s_lshl_b64 s[2:3], s[6:7], 8
	v_or_b32_e32 v5, s2, v0
	v_mov_b32_e32 v6, s3
	s_waitcnt lgkmcnt(0)
	v_cmp_gt_i64_e32 vcc, s[22:23], v[5:6]
	v_mov_b32_e32 v3, s16
	v_mov_b32_e32 v4, s17
	s_and_saveexec_b64 s[2:3], vcc
	s_cbranch_execz .LBB2_2
; %bb.1:
	v_mov_b32_e32 v3, s21
	v_add_co_u32_e32 v5, vcc, s20, v5
	v_addc_co_u32_e32 v3, vcc, v6, v3, vcc
	v_cvt_f64_i32_e32 v[3:4], v3
	v_cvt_f64_u32_e32 v[5:6], v5
	s_load_dwordx4 s[20:23], s[4:5], 0x0
	s_load_dwordx4 s[24:27], s[4:5], 0x48
	v_ldexp_f64 v[3:4], v[3:4], 32
	s_mov_b32 s10, 0
	s_brev_b32 s11, 8
	v_add_f64 v[3:4], v[3:4], v[5:6]
	s_waitcnt lgkmcnt(0)
	v_mov_b32_e32 v5, s20
	v_mov_b32_e32 v6, s21
	v_fma_f64 v[3:4], s[22:23], v[3:4], v[5:6]
	s_load_dwordx4 s[20:23], s[4:5], 0x50
	s_waitcnt lgkmcnt(0)
	v_mov_b32_e32 v5, s22
	v_mov_b32_e32 v6, s23
	v_add_f64 v[3:4], v[3:4], -s[20:21]
	v_add_f64 v[5:6], s[24:25], -v[5:6]
	v_mul_f64 v[3:4], v[3:4], v[3:4]
	v_fma_f64 v[3:4], v[5:6], v[5:6], v[3:4]
	v_mov_b32_e32 v5, 0x100
	v_cmp_gt_f64_e32 vcc, s[10:11], v[3:4]
	v_cndmask_b32_e32 v5, 0, v5, vcc
	v_ldexp_f64 v[3:4], v[3:4], v5
	v_rsq_f64_e32 v[5:6], v[3:4]
	v_mul_f64 v[7:8], v[3:4], v[5:6]
	v_mul_f64 v[5:6], v[5:6], 0.5
	v_fma_f64 v[9:10], -v[5:6], v[7:8], 0.5
	v_fma_f64 v[7:8], v[7:8], v[9:10], v[7:8]
	v_fma_f64 v[5:6], v[5:6], v[9:10], v[5:6]
	v_fma_f64 v[9:10], -v[7:8], v[7:8], v[3:4]
	v_fma_f64 v[7:8], v[9:10], v[5:6], v[7:8]
	v_fma_f64 v[9:10], -v[7:8], v[7:8], v[3:4]
	v_fma_f64 v[5:6], v[9:10], v[5:6], v[7:8]
	v_mov_b32_e32 v7, 0xffffff80
	v_mov_b32_e32 v8, 0x260
	v_cndmask_b32_e32 v7, 0, v7, vcc
	v_cmp_class_f64_e32 vcc, v[3:4], v8
	v_ldexp_f64 v[5:6], v[5:6], v7
	v_cndmask_b32_e32 v4, v6, v4, vcc
	v_cndmask_b32_e32 v3, v5, v3, vcc
	v_div_scale_f64 v[5:6], s[10:11], v[3:4], v[3:4], 1.0
	v_div_scale_f64 v[11:12], vcc, 1.0, v[3:4], 1.0
	v_rcp_f64_e32 v[7:8], v[5:6]
	v_fma_f64 v[9:10], -v[5:6], v[7:8], 1.0
	v_fma_f64 v[7:8], v[7:8], v[9:10], v[7:8]
	v_fma_f64 v[9:10], -v[5:6], v[7:8], 1.0
	v_fma_f64 v[7:8], v[7:8], v[9:10], v[7:8]
	v_mul_f64 v[9:10], v[11:12], v[7:8]
	v_fma_f64 v[5:6], -v[5:6], v[9:10], v[11:12]
	v_div_fmas_f64 v[5:6], v[5:6], v[7:8], v[9:10]
	v_div_fixup_f64 v[3:4], v[5:6], v[3:4], 1.0
	v_add_f64 v[3:4], s[16:17], v[3:4]
.LBB2_2:
	s_or_b64 exec, exec, s[2:3]
	s_cmp_lg_u64 s[12:13], 0
	s_cbranch_scc0 .LBB2_4
.LBB2_3:
	s_endpgm
.LBB2_4:
	s_load_dwordx2 s[20:21], s[4:5], 0x78
	s_add_u32 s1, s4, 0x78
	v_mov_b32_e32 v5, 0
	s_addc_u32 s3, s5, 0
	global_load_dword v6, v5, s[4:5] offset:134
	s_waitcnt lgkmcnt(0)
	s_cmp_lt_u32 s6, s20
	s_cselect_b32 s2, 12, 18
	s_add_u32 s2, s1, s2
	s_addc_u32 s3, s3, 0
	global_load_ushort v5, v5, s[2:3]
	v_mbcnt_lo_u32_b32 v7, -1, 0
	s_waitcnt vmcnt(1)
	v_readfirstlane_b32 s1, v6
	s_lshr_b32 s2, s1, 16
	s_and_b32 s1, s1, 0xffff
	s_waitcnt vmcnt(0)
	v_readfirstlane_b32 s3, v5
	s_mul_i32 s1, s1, s3
	v_mul_lo_u32 v2, s1, v2
	s_mul_i32 s2, s1, s2
	s_ashr_i32 s3, s2, 31
	s_and_b32 s1, s2, 63
	v_mul_u32_u24_e32 v1, v1, v5
	s_cmp_lg_u32 s1, 0
	s_cselect_b64 s[10:11], -1, 0
	s_cmp_eq_u32 s1, 0
	v_add3_u32 v11, v1, v0, v2
	v_mbcnt_hi_u32_b32 v2, -1, v7
	s_cbranch_scc1 .LBB2_40
; %bb.5:
	v_and_b32_e32 v7, 64, v2
	v_xor_b32_e32 v5, 1, v11
	v_and_or_b32 v0, v5, 63, v7
	v_lshlrev_b32_e32 v1, 2, v0
	ds_bpermute_b32 v0, v1, v3
	ds_bpermute_b32 v1, v1, v4
	v_xor_b32_e32 v8, 2, v11
	v_and_or_b32 v6, v8, 63, v7
	v_cmp_gt_i32_e32 vcc, s2, v5
	v_lshlrev_b32_e32 v6, 2, v6
	s_waitcnt lgkmcnt(0)
	v_add_f64 v[0:1], v[3:4], v[0:1]
	v_xor_b32_e32 v9, 4, v11
	v_and_or_b32 v10, v9, 63, v7
	v_lshlrev_b32_e32 v10, 2, v10
	v_cndmask_b32_e32 v1, v4, v1, vcc
	v_cndmask_b32_e32 v0, v3, v0, vcc
	ds_bpermute_b32 v5, v6, v0
	ds_bpermute_b32 v6, v6, v1
	v_cmp_gt_i32_e32 vcc, s2, v8
	v_xor_b32_e32 v8, 8, v11
	s_waitcnt lgkmcnt(0)
	v_add_f64 v[5:6], v[0:1], v[5:6]
	v_cndmask_b32_e32 v1, v1, v6, vcc
	v_cndmask_b32_e32 v0, v0, v5, vcc
	ds_bpermute_b32 v5, v10, v0
	ds_bpermute_b32 v6, v10, v1
	v_and_or_b32 v10, v8, 63, v7
	v_cmp_gt_i32_e32 vcc, s2, v9
	v_lshlrev_b32_e32 v10, 2, v10
	v_xor_b32_e32 v9, 16, v11
	s_waitcnt lgkmcnt(0)
	v_add_f64 v[5:6], v[0:1], v[5:6]
	v_cndmask_b32_e32 v1, v1, v6, vcc
	v_cndmask_b32_e32 v0, v0, v5, vcc
	ds_bpermute_b32 v5, v10, v0
	ds_bpermute_b32 v6, v10, v1
	v_and_or_b32 v10, v9, 63, v7
	v_cmp_gt_i32_e32 vcc, s2, v8
	v_lshlrev_b32_e32 v10, 2, v10
	v_xor_b32_e32 v8, 32, v11
	s_waitcnt lgkmcnt(0)
	v_add_f64 v[5:6], v[0:1], v[5:6]
	v_and_or_b32 v7, v8, 63, v7
	v_lshlrev_b32_e32 v7, 2, v7
	v_cndmask_b32_e32 v1, v1, v6, vcc
	v_cndmask_b32_e32 v0, v0, v5, vcc
	ds_bpermute_b32 v5, v10, v0
	ds_bpermute_b32 v6, v10, v1
	v_cmp_gt_i32_e32 vcc, s2, v9
	s_waitcnt lgkmcnt(0)
	v_add_f64 v[5:6], v[0:1], v[5:6]
	v_cndmask_b32_e32 v1, v1, v6, vcc
	v_cndmask_b32_e32 v0, v0, v5, vcc
	ds_bpermute_b32 v5, v7, v0
	ds_bpermute_b32 v6, v7, v1
	v_cmp_gt_i32_e32 vcc, s2, v8
	s_waitcnt lgkmcnt(0)
	v_add_f64 v[5:6], v[0:1], v[5:6]
	v_cndmask_b32_e32 v1, v1, v6, vcc
	v_cndmask_b32_e32 v0, v0, v5, vcc
	s_load_dwordx2 s[22:23], s[4:5], 0x38
	s_cbranch_execnz .LBB2_7
.LBB2_6:
	v_and_b32_e32 v0, 64, v2
	v_add_u32_e32 v7, 64, v0
	v_xor_b32_e32 v0, 1, v2
	v_cmp_lt_i32_e32 vcc, v0, v7
	v_cndmask_b32_e32 v0, v2, v0, vcc
	v_lshlrev_b32_e32 v1, 2, v0
	ds_bpermute_b32 v0, v1, v3
	ds_bpermute_b32 v1, v1, v4
	v_xor_b32_e32 v5, 2, v2
	v_cmp_lt_i32_e32 vcc, v5, v7
	v_cndmask_b32_e32 v5, v2, v5, vcc
	v_lshlrev_b32_e32 v6, 2, v5
	s_waitcnt lgkmcnt(0)
	v_add_f64 v[0:1], v[3:4], v[0:1]
	ds_bpermute_b32 v5, v6, v0
	ds_bpermute_b32 v6, v6, v1
	s_waitcnt lgkmcnt(0)
	v_add_f64 v[0:1], v[0:1], v[5:6]
	v_xor_b32_e32 v5, 4, v2
	v_cmp_lt_i32_e32 vcc, v5, v7
	v_cndmask_b32_e32 v5, v2, v5, vcc
	v_lshlrev_b32_e32 v6, 2, v5
	ds_bpermute_b32 v5, v6, v0
	ds_bpermute_b32 v6, v6, v1
	s_waitcnt lgkmcnt(0)
	v_add_f64 v[0:1], v[0:1], v[5:6]
	v_xor_b32_e32 v5, 8, v2
	v_cmp_lt_i32_e32 vcc, v5, v7
	v_cndmask_b32_e32 v5, v2, v5, vcc
	v_lshlrev_b32_e32 v6, 2, v5
	ds_bpermute_b32 v5, v6, v0
	ds_bpermute_b32 v6, v6, v1
	s_waitcnt lgkmcnt(0)
	v_add_f64 v[0:1], v[0:1], v[5:6]
	v_xor_b32_e32 v5, 16, v2
	v_cmp_lt_i32_e32 vcc, v5, v7
	v_cndmask_b32_e32 v5, v2, v5, vcc
	v_lshlrev_b32_e32 v6, 2, v5
	ds_bpermute_b32 v5, v6, v0
	ds_bpermute_b32 v6, v6, v1
	s_waitcnt lgkmcnt(0)
	v_add_f64 v[0:1], v[0:1], v[5:6]
	v_xor_b32_e32 v5, 32, v2
	v_cmp_lt_i32_e32 vcc, v5, v7
	v_cndmask_b32_e32 v5, v2, v5, vcc
	v_lshlrev_b32_e32 v6, 2, v5
	ds_bpermute_b32 v5, v6, v0
	ds_bpermute_b32 v6, v6, v1
	s_waitcnt lgkmcnt(0)
	v_add_f64 v[0:1], v[0:1], v[5:6]
.LBB2_7:
	v_ashrrev_i32_e32 v12, 31, v11
	s_load_dword s1, s[4:5], 0x80
	v_lshrrev_b32_e32 v5, 26, v12
	v_add_u32_e32 v5, v11, v5
	v_ashrrev_i32_e32 v13, 6, v5
	v_and_b32_e32 v5, 0xffffffc0, v5
	v_sub_u32_e32 v5, v11, v5
	s_cmp_gt_i32 s2, 64
	s_cselect_b64 s[12:13], -1, 0
	s_cmpk_lt_i32 s2, 0x41
	v_ashrrev_i32_e32 v6, 31, v5
	s_cbranch_scc1 .LBB2_15
; %bb.8:
	v_cmp_eq_u32_e32 vcc, 0, v5
	s_and_saveexec_b64 s[4:5], vcc
; %bb.9:
	v_lshlrev_b32_e32 v7, 3, v13
	ds_write_b64 v7, v[0:1]
; %bb.10:
	s_or_b64 exec, exec, s[4:5]
	v_add_co_u32_e32 v7, vcc, 63, v11
	v_addc_co_u32_e32 v8, vcc, 0, v12, vcc
	s_mov_b64 s[4:5], 0x7f
	v_cmp_gt_u64_e32 vcc, s[4:5], v[7:8]
	s_waitcnt lgkmcnt(0)
	s_barrier
	s_and_saveexec_b64 s[4:5], vcc
	s_cbranch_execz .LBB2_14
; %bb.11:
	v_lshlrev_b64 v[0:1], 6, v[5:6]
	v_cmp_gt_i64_e32 vcc, s[2:3], v[0:1]
	v_mov_b32_e32 v0, s16
	v_mov_b32_e32 v1, s17
	s_and_saveexec_b64 s[24:25], vcc
; %bb.12:
	v_lshlrev_b32_e32 v0, 3, v5
	ds_read_b64 v[0:1], v0
; %bb.13:
	s_or_b64 exec, exec, s[24:25]
	v_and_b32_e32 v7, 64, v2
	v_add_u32_e32 v9, 64, v7
	v_xor_b32_e32 v7, 1, v2
	v_cmp_lt_i32_e32 vcc, v7, v9
	v_cndmask_b32_e32 v7, v2, v7, vcc
	v_lshlrev_b32_e32 v8, 2, v7
	s_waitcnt lgkmcnt(0)
	ds_bpermute_b32 v7, v8, v0
	ds_bpermute_b32 v8, v8, v1
	s_waitcnt lgkmcnt(0)
	v_add_f64 v[0:1], v[0:1], v[7:8]
	v_xor_b32_e32 v7, 2, v2
	v_cmp_lt_i32_e32 vcc, v7, v9
	v_cndmask_b32_e32 v7, v2, v7, vcc
	v_lshlrev_b32_e32 v8, 2, v7
	ds_bpermute_b32 v7, v8, v0
	ds_bpermute_b32 v8, v8, v1
	s_waitcnt lgkmcnt(0)
	v_add_f64 v[0:1], v[0:1], v[7:8]
	v_xor_b32_e32 v7, 4, v2
	v_cmp_lt_i32_e32 vcc, v7, v9
	v_cndmask_b32_e32 v7, v2, v7, vcc
	v_lshlrev_b32_e32 v8, 2, v7
	;; [unrolled: 8-line block ×3, first 2 shown]
	ds_bpermute_b32 v7, v8, v0
	ds_bpermute_b32 v8, v8, v1
	s_waitcnt lgkmcnt(0)
	v_add_f64 v[0:1], v[0:1], v[7:8]
.LBB2_14:
	s_or_b64 exec, exec, s[4:5]
	s_barrier
.LBB2_15:
	s_mul_i32 s0, s20, s0
	s_mul_i32 s4, s21, s20
	s_add_i32 s0, s0, s6
	s_mul_i32 s5, s4, s8
	s_add_i32 s0, s0, s5
	s_waitcnt lgkmcnt(0)
	s_mul_i32 s6, s1, s4
	s_ashr_i32 s1, s0, 31
	s_lshr_b32 s1, s1, 27
	s_add_i32 s8, s0, s1
	s_and_b32 s1, s8, 0xffffffe0
	s_sub_i32 s4, s0, s1
	s_ashr_i32 s0, s6, 31
	s_lshr_b32 s0, s0, 27
	s_add_i32 s0, s6, s0
	s_ashr_i32 s5, s0, 5
	s_andn2_b32 s0, s0, 31
	s_sub_i32 s0, s6, s0
	s_cmp_lt_i32 s4, s0
	s_cselect_b64 s[0:1], -1, 0
	s_cmp_lg_u64 s[0:1], 0
	s_addc_u32 s5, s5, 0
	s_cmp_gt_u32 s5, 1
	v_cmp_eq_u32_e64 s[0:1], 0, v11
	s_cbranch_scc0 .LBB2_36
; %bb.16:
	s_add_i32 s6, s6, 31
	s_ashr_i32 s7, s6, 31
	s_lshr_b32 s7, s7, 27
	s_add_i32 s6, s6, s7
	s_ashr_i32 s20, s6, 5
	s_mul_i32 s20, s20, s4
	s_and_saveexec_b64 s[6:7], s[0:1]
	s_cbranch_execz .LBB2_18
; %bb.17:
	s_ashr_i32 s9, s8, 5
	s_add_i32 s24, s20, s9
	s_ashr_i32 s25, s24, 31
	s_lshl_b32 s8, s4, 3
	s_lshl_b64 s[24:25], s[24:25], 3
	s_add_u32 s24, s22, s24
	s_addc_u32 s25, s23, s25
	s_ashr_i32 s9, s8, 31
	s_lshl_b64 s[8:9], s[8:9], 2
	v_mov_b32_e32 v7, s24
	s_add_u32 s8, s18, s8
	v_mov_b32_e32 v8, s25
	s_addc_u32 s9, s19, s9
	s_add_i32 s18, s5, -1
	flat_store_dwordx2 v[7:8], v[0:1]
	v_mov_b32_e32 v7, 0
	v_mov_b32_e32 v8, s18
	s_waitcnt vmcnt(0) lgkmcnt(0)
	global_atomic_inc v8, v7, v8, s[8:9] glc
	s_waitcnt vmcnt(0)
	v_cmp_eq_u32_e32 vcc, s18, v8
	v_cndmask_b32_e64 v8, 0, 1, vcc
	ds_write_b8 v7, v8 offset:128
.LBB2_18:
	s_or_b64 exec, exec, s[6:7]
	v_mov_b32_e32 v7, 0
	s_waitcnt lgkmcnt(0)
	s_barrier
	ds_read_u8 v7, v7 offset:128
	s_mov_b64 s[6:7], 0
	s_waitcnt lgkmcnt(0)
	v_and_b32_e32 v7, 1, v7
	v_cmp_eq_u32_e32 vcc, 0, v7
	v_mov_b32_e32 v8, v4
	v_mov_b32_e32 v7, v3
	s_cbranch_vccnz .LBB2_35
; %bb.19:
	v_mov_b32_e32 v7, s16
	v_cmp_gt_u32_e32 vcc, s5, v11
	v_mov_b32_e32 v8, s17
	s_and_saveexec_b64 s[6:7], vcc
	s_cbranch_execz .LBB2_23
; %bb.20:
	v_mov_b32_e32 v7, s16
	s_mov_b64 s[8:9], 0
	v_mov_b32_e32 v8, s17
	v_mov_b32_e32 v10, 0
	;; [unrolled: 1-line block ×4, first 2 shown]
.LBB2_21:                               ; =>This Inner Loop Header: Depth=1
	v_add_u32_e32 v9, s20, v15
	v_lshlrev_b64 v[16:17], 3, v[9:10]
	v_add_u32_e32 v15, s2, v15
	v_add_co_u32_e32 v16, vcc, s22, v16
	v_addc_co_u32_e32 v17, vcc, v14, v17, vcc
	flat_load_dwordx2 v[16:17], v[16:17] glc
	v_cmp_le_u32_e32 vcc, s5, v15
	s_or_b64 s[8:9], vcc, s[8:9]
	s_waitcnt vmcnt(0) lgkmcnt(0)
	v_add_f64 v[7:8], v[7:8], v[16:17]
	s_andn2_b64 exec, exec, s[8:9]
	s_cbranch_execnz .LBB2_21
; %bb.22:
	s_or_b64 exec, exec, s[8:9]
.LBB2_23:
	s_or_b64 exec, exec, s[6:7]
	s_andn2_b64 vcc, exec, s[10:11]
	s_cbranch_vccnz .LBB2_41
; %bb.24:
	v_and_b32_e32 v16, 64, v2
	v_xor_b32_e32 v14, 1, v11
	v_and_or_b32 v9, v14, 63, v16
	v_lshlrev_b32_e32 v10, 2, v9
	ds_bpermute_b32 v9, v10, v7
	ds_bpermute_b32 v10, v10, v8
	v_xor_b32_e32 v17, 2, v11
	v_and_or_b32 v15, v17, 63, v16
	v_cmp_gt_i32_e32 vcc, s2, v14
	v_lshlrev_b32_e32 v15, 2, v15
	s_waitcnt lgkmcnt(0)
	v_add_f64 v[9:10], v[7:8], v[9:10]
	v_xor_b32_e32 v18, 4, v11
	v_and_or_b32 v19, v18, 63, v16
	v_lshlrev_b32_e32 v19, 2, v19
	v_cndmask_b32_e32 v10, v8, v10, vcc
	v_cndmask_b32_e32 v9, v7, v9, vcc
	ds_bpermute_b32 v14, v15, v9
	ds_bpermute_b32 v15, v15, v10
	v_cmp_gt_i32_e32 vcc, s2, v17
	v_xor_b32_e32 v17, 8, v11
	s_waitcnt lgkmcnt(0)
	v_add_f64 v[14:15], v[9:10], v[14:15]
	v_cndmask_b32_e32 v10, v10, v15, vcc
	v_cndmask_b32_e32 v9, v9, v14, vcc
	ds_bpermute_b32 v14, v19, v9
	ds_bpermute_b32 v15, v19, v10
	v_and_or_b32 v19, v17, 63, v16
	v_cmp_gt_i32_e32 vcc, s2, v18
	v_lshlrev_b32_e32 v19, 2, v19
	v_xor_b32_e32 v18, 16, v11
	s_waitcnt lgkmcnt(0)
	v_add_f64 v[14:15], v[9:10], v[14:15]
	v_cndmask_b32_e32 v10, v10, v15, vcc
	v_cndmask_b32_e32 v9, v9, v14, vcc
	ds_bpermute_b32 v14, v19, v9
	ds_bpermute_b32 v15, v19, v10
	v_and_or_b32 v19, v18, 63, v16
	v_cmp_gt_i32_e32 vcc, s2, v17
	v_lshlrev_b32_e32 v19, 2, v19
	v_xor_b32_e32 v17, 32, v11
	s_waitcnt lgkmcnt(0)
	v_add_f64 v[14:15], v[9:10], v[14:15]
	v_and_or_b32 v16, v17, 63, v16
	v_lshlrev_b32_e32 v16, 2, v16
	v_cndmask_b32_e32 v10, v10, v15, vcc
	v_cndmask_b32_e32 v9, v9, v14, vcc
	ds_bpermute_b32 v14, v19, v9
	ds_bpermute_b32 v15, v19, v10
	v_cmp_gt_i32_e32 vcc, s2, v18
	s_waitcnt lgkmcnt(0)
	v_add_f64 v[14:15], v[9:10], v[14:15]
	v_cndmask_b32_e32 v10, v10, v15, vcc
	v_cndmask_b32_e32 v9, v9, v14, vcc
	ds_bpermute_b32 v14, v16, v9
	ds_bpermute_b32 v15, v16, v10
	v_cmp_gt_i32_e32 vcc, s2, v17
	s_waitcnt lgkmcnt(0)
	v_add_f64 v[14:15], v[9:10], v[14:15]
	v_cndmask_b32_e32 v10, v10, v15, vcc
	v_cndmask_b32_e32 v9, v9, v14, vcc
	s_cbranch_execnz .LBB2_26
.LBB2_25:
	v_and_b32_e32 v9, 64, v2
	v_add_u32_e32 v14, 64, v9
	v_xor_b32_e32 v9, 1, v2
	v_cmp_lt_i32_e32 vcc, v9, v14
	v_cndmask_b32_e32 v9, v2, v9, vcc
	v_lshlrev_b32_e32 v10, 2, v9
	ds_bpermute_b32 v9, v10, v7
	ds_bpermute_b32 v10, v10, v8
	s_waitcnt lgkmcnt(0)
	v_add_f64 v[7:8], v[7:8], v[9:10]
	v_xor_b32_e32 v9, 2, v2
	v_cmp_lt_i32_e32 vcc, v9, v14
	v_cndmask_b32_e32 v9, v2, v9, vcc
	v_lshlrev_b32_e32 v10, 2, v9
	ds_bpermute_b32 v9, v10, v7
	ds_bpermute_b32 v10, v10, v8
	s_waitcnt lgkmcnt(0)
	v_add_f64 v[7:8], v[7:8], v[9:10]
	;; [unrolled: 8-line block ×6, first 2 shown]
.LBB2_26:
	s_andn2_b64 vcc, exec, s[12:13]
	s_cbranch_vccnz .LBB2_34
; %bb.27:
	v_cmp_eq_u32_e32 vcc, 0, v5
	s_and_saveexec_b64 s[6:7], vcc
; %bb.28:
	v_lshlrev_b32_e32 v7, 3, v13
	ds_write_b64 v7, v[9:10]
; %bb.29:
	s_or_b64 exec, exec, s[6:7]
	v_add_co_u32_e32 v7, vcc, 63, v11
	v_addc_co_u32_e32 v8, vcc, 0, v12, vcc
	s_mov_b64 s[6:7], 0x7f
	v_cmp_gt_u64_e32 vcc, s[6:7], v[7:8]
	s_waitcnt lgkmcnt(0)
	s_barrier
	s_and_saveexec_b64 s[6:7], vcc
	s_cbranch_execz .LBB2_33
; %bb.30:
	v_lshlrev_b64 v[6:7], 6, v[5:6]
	v_cmp_gt_i64_e32 vcc, s[2:3], v[6:7]
	v_mov_b32_e32 v6, s16
	v_mov_b32_e32 v7, s17
	s_and_saveexec_b64 s[2:3], vcc
; %bb.31:
	v_lshlrev_b32_e32 v5, 3, v5
	ds_read_b64 v[6:7], v5
; %bb.32:
	s_or_b64 exec, exec, s[2:3]
	v_and_b32_e32 v5, 64, v2
	v_add_u32_e32 v10, 64, v5
	v_xor_b32_e32 v5, 1, v2
	v_cmp_lt_i32_e32 vcc, v5, v10
	v_cndmask_b32_e32 v5, v2, v5, vcc
	v_lshlrev_b32_e32 v5, 2, v5
	s_waitcnt lgkmcnt(0)
	ds_bpermute_b32 v8, v5, v6
	ds_bpermute_b32 v9, v5, v7
	s_waitcnt lgkmcnt(0)
	v_add_f64 v[5:6], v[6:7], v[8:9]
	v_xor_b32_e32 v7, 2, v2
	v_cmp_lt_i32_e32 vcc, v7, v10
	v_cndmask_b32_e32 v7, v2, v7, vcc
	v_lshlrev_b32_e32 v8, 2, v7
	ds_bpermute_b32 v7, v8, v5
	ds_bpermute_b32 v8, v8, v6
	s_waitcnt lgkmcnt(0)
	v_add_f64 v[5:6], v[5:6], v[7:8]
	v_xor_b32_e32 v7, 4, v2
	v_cmp_lt_i32_e32 vcc, v7, v10
	v_cndmask_b32_e32 v7, v2, v7, vcc
	v_lshlrev_b32_e32 v8, 2, v7
	;; [unrolled: 8-line block ×3, first 2 shown]
	ds_bpermute_b32 v7, v2, v5
	ds_bpermute_b32 v8, v2, v6
	s_waitcnt lgkmcnt(0)
	v_add_f64 v[9:10], v[5:6], v[7:8]
.LBB2_33:
	s_or_b64 exec, exec, s[6:7]
	s_barrier
.LBB2_34:
	v_mov_b32_e32 v2, 0
	ds_read_u8 v2, v2 offset:128
	v_cndmask_b32_e64 v8, v4, v10, s[0:1]
	v_cndmask_b32_e64 v7, v3, v9, s[0:1]
	s_waitcnt lgkmcnt(0)
	v_and_b32_e32 v2, 1, v2
	v_cmp_eq_u32_e64 s[6:7], 1, v2
.LBB2_35:
	s_and_b64 s[2:3], s[0:1], s[6:7]
	s_branch .LBB2_38
.LBB2_36:
                                        ; implicit-def: $sgpr2_sgpr3
                                        ; implicit-def: $vgpr7_vgpr8
	s_cbranch_execz .LBB2_38
; %bb.37:
	v_cndmask_b32_e64 v8, v4, v1, s[0:1]
	v_cndmask_b32_e64 v7, v3, v0, s[0:1]
	s_andn2_b64 s[2:3], s[2:3], exec
	s_and_b64 s[0:1], s[0:1], exec
	s_or_b64 s[2:3], s[2:3], s[0:1]
.LBB2_38:
	s_and_saveexec_b64 s[0:1], s[2:3]
	s_cbranch_execz .LBB2_3
; %bb.39:
	s_ashr_i32 s5, s4, 31
	s_lshl_b64 s[0:1], s[4:5], 3
	s_add_u32 s0, s14, s0
	s_addc_u32 s1, s15, s1
	v_mov_b32_e32 v0, s0
	v_mov_b32_e32 v1, s1
	flat_store_dwordx2 v[0:1], v[7:8]
	s_endpgm
.LBB2_40:
                                        ; implicit-def: $vgpr0_vgpr1
	s_load_dwordx2 s[22:23], s[4:5], 0x38
	s_branch .LBB2_6
.LBB2_41:
                                        ; implicit-def: $vgpr9_vgpr10
	s_branch .LBB2_25
	.section	.rodata,"a",@progbits
	.p2align	6, 0x0
	.amdhsa_kernel _ZN4RAJA6policy3hip4impl18forallp_hip_kernelINS1_8hip_execINS_17iteration_mapping6DirectENS_3hip11IndexGlobalILNS_9named_dimE0ELi256ELi0EEENS7_40AvoidDeviceMaxThreadOccupancyConcretizerINS7_34FractionOffsetOccupancyConcretizerINS_8FractionImLm1ELm1EEELln1EEEEELb1EEENS_9Iterators16numeric_iteratorIllPlEEZN8rajaperf5basic8TRAP_INT17runHipVariantRAJAILm256ENSM_13gpu_algorithm19block_device_helperENSM_11gpu_mapping20global_direct_helperEEEvNSM_9VariantIDEEUllE_lNS_4expt15ForallParamPackIJEEES6_SA_TnNSt9enable_ifIXaasr3std10is_base_ofINS5_10DirectBaseET4_EE5valuegtsrT5_10block_sizeLi0EEmE4typeELm256EEEvT1_T0_T2_T3_
		.amdhsa_group_segment_fixed_size 129
		.amdhsa_private_segment_fixed_size 0
		.amdhsa_kernarg_size 376
		.amdhsa_user_sgpr_count 6
		.amdhsa_user_sgpr_private_segment_buffer 1
		.amdhsa_user_sgpr_dispatch_ptr 0
		.amdhsa_user_sgpr_queue_ptr 0
		.amdhsa_user_sgpr_kernarg_segment_ptr 1
		.amdhsa_user_sgpr_dispatch_id 0
		.amdhsa_user_sgpr_flat_scratch_init 0
		.amdhsa_user_sgpr_private_segment_size 0
		.amdhsa_uses_dynamic_stack 0
		.amdhsa_system_sgpr_private_segment_wavefront_offset 0
		.amdhsa_system_sgpr_workgroup_id_x 1
		.amdhsa_system_sgpr_workgroup_id_y 1
		.amdhsa_system_sgpr_workgroup_id_z 1
		.amdhsa_system_sgpr_workgroup_info 0
		.amdhsa_system_vgpr_workitem_id 2
		.amdhsa_next_free_vgpr 20
		.amdhsa_next_free_sgpr 28
		.amdhsa_reserve_vcc 1
		.amdhsa_reserve_flat_scratch 0
		.amdhsa_float_round_mode_32 0
		.amdhsa_float_round_mode_16_64 0
		.amdhsa_float_denorm_mode_32 3
		.amdhsa_float_denorm_mode_16_64 3
		.amdhsa_dx10_clamp 1
		.amdhsa_ieee_mode 1
		.amdhsa_fp16_overflow 0
		.amdhsa_exception_fp_ieee_invalid_op 0
		.amdhsa_exception_fp_denorm_src 0
		.amdhsa_exception_fp_ieee_div_zero 0
		.amdhsa_exception_fp_ieee_overflow 0
		.amdhsa_exception_fp_ieee_underflow 0
		.amdhsa_exception_fp_ieee_inexact 0
		.amdhsa_exception_int_div_zero 0
	.end_amdhsa_kernel
	.section	.text._ZN4RAJA6policy3hip4impl18forallp_hip_kernelINS1_8hip_execINS_17iteration_mapping6DirectENS_3hip11IndexGlobalILNS_9named_dimE0ELi256ELi0EEENS7_40AvoidDeviceMaxThreadOccupancyConcretizerINS7_34FractionOffsetOccupancyConcretizerINS_8FractionImLm1ELm1EEELln1EEEEELb1EEENS_9Iterators16numeric_iteratorIllPlEEZN8rajaperf5basic8TRAP_INT17runHipVariantRAJAILm256ENSM_13gpu_algorithm19block_device_helperENSM_11gpu_mapping20global_direct_helperEEEvNSM_9VariantIDEEUllE_lNS_4expt15ForallParamPackIJEEES6_SA_TnNSt9enable_ifIXaasr3std10is_base_ofINS5_10DirectBaseET4_EE5valuegtsrT5_10block_sizeLi0EEmE4typeELm256EEEvT1_T0_T2_T3_,"axG",@progbits,_ZN4RAJA6policy3hip4impl18forallp_hip_kernelINS1_8hip_execINS_17iteration_mapping6DirectENS_3hip11IndexGlobalILNS_9named_dimE0ELi256ELi0EEENS7_40AvoidDeviceMaxThreadOccupancyConcretizerINS7_34FractionOffsetOccupancyConcretizerINS_8FractionImLm1ELm1EEELln1EEEEELb1EEENS_9Iterators16numeric_iteratorIllPlEEZN8rajaperf5basic8TRAP_INT17runHipVariantRAJAILm256ENSM_13gpu_algorithm19block_device_helperENSM_11gpu_mapping20global_direct_helperEEEvNSM_9VariantIDEEUllE_lNS_4expt15ForallParamPackIJEEES6_SA_TnNSt9enable_ifIXaasr3std10is_base_ofINS5_10DirectBaseET4_EE5valuegtsrT5_10block_sizeLi0EEmE4typeELm256EEEvT1_T0_T2_T3_,comdat
.Lfunc_end2:
	.size	_ZN4RAJA6policy3hip4impl18forallp_hip_kernelINS1_8hip_execINS_17iteration_mapping6DirectENS_3hip11IndexGlobalILNS_9named_dimE0ELi256ELi0EEENS7_40AvoidDeviceMaxThreadOccupancyConcretizerINS7_34FractionOffsetOccupancyConcretizerINS_8FractionImLm1ELm1EEELln1EEEEELb1EEENS_9Iterators16numeric_iteratorIllPlEEZN8rajaperf5basic8TRAP_INT17runHipVariantRAJAILm256ENSM_13gpu_algorithm19block_device_helperENSM_11gpu_mapping20global_direct_helperEEEvNSM_9VariantIDEEUllE_lNS_4expt15ForallParamPackIJEEES6_SA_TnNSt9enable_ifIXaasr3std10is_base_ofINS5_10DirectBaseET4_EE5valuegtsrT5_10block_sizeLi0EEmE4typeELm256EEEvT1_T0_T2_T3_, .Lfunc_end2-_ZN4RAJA6policy3hip4impl18forallp_hip_kernelINS1_8hip_execINS_17iteration_mapping6DirectENS_3hip11IndexGlobalILNS_9named_dimE0ELi256ELi0EEENS7_40AvoidDeviceMaxThreadOccupancyConcretizerINS7_34FractionOffsetOccupancyConcretizerINS_8FractionImLm1ELm1EEELln1EEEEELb1EEENS_9Iterators16numeric_iteratorIllPlEEZN8rajaperf5basic8TRAP_INT17runHipVariantRAJAILm256ENSM_13gpu_algorithm19block_device_helperENSM_11gpu_mapping20global_direct_helperEEEvNSM_9VariantIDEEUllE_lNS_4expt15ForallParamPackIJEEES6_SA_TnNSt9enable_ifIXaasr3std10is_base_ofINS5_10DirectBaseET4_EE5valuegtsrT5_10block_sizeLi0EEmE4typeELm256EEEvT1_T0_T2_T3_
                                        ; -- End function
	.set _ZN4RAJA6policy3hip4impl18forallp_hip_kernelINS1_8hip_execINS_17iteration_mapping6DirectENS_3hip11IndexGlobalILNS_9named_dimE0ELi256ELi0EEENS7_40AvoidDeviceMaxThreadOccupancyConcretizerINS7_34FractionOffsetOccupancyConcretizerINS_8FractionImLm1ELm1EEELln1EEEEELb1EEENS_9Iterators16numeric_iteratorIllPlEEZN8rajaperf5basic8TRAP_INT17runHipVariantRAJAILm256ENSM_13gpu_algorithm19block_device_helperENSM_11gpu_mapping20global_direct_helperEEEvNSM_9VariantIDEEUllE_lNS_4expt15ForallParamPackIJEEES6_SA_TnNSt9enable_ifIXaasr3std10is_base_ofINS5_10DirectBaseET4_EE5valuegtsrT5_10block_sizeLi0EEmE4typeELm256EEEvT1_T0_T2_T3_.num_vgpr, 20
	.set _ZN4RAJA6policy3hip4impl18forallp_hip_kernelINS1_8hip_execINS_17iteration_mapping6DirectENS_3hip11IndexGlobalILNS_9named_dimE0ELi256ELi0EEENS7_40AvoidDeviceMaxThreadOccupancyConcretizerINS7_34FractionOffsetOccupancyConcretizerINS_8FractionImLm1ELm1EEELln1EEEEELb1EEENS_9Iterators16numeric_iteratorIllPlEEZN8rajaperf5basic8TRAP_INT17runHipVariantRAJAILm256ENSM_13gpu_algorithm19block_device_helperENSM_11gpu_mapping20global_direct_helperEEEvNSM_9VariantIDEEUllE_lNS_4expt15ForallParamPackIJEEES6_SA_TnNSt9enable_ifIXaasr3std10is_base_ofINS5_10DirectBaseET4_EE5valuegtsrT5_10block_sizeLi0EEmE4typeELm256EEEvT1_T0_T2_T3_.num_agpr, 0
	.set _ZN4RAJA6policy3hip4impl18forallp_hip_kernelINS1_8hip_execINS_17iteration_mapping6DirectENS_3hip11IndexGlobalILNS_9named_dimE0ELi256ELi0EEENS7_40AvoidDeviceMaxThreadOccupancyConcretizerINS7_34FractionOffsetOccupancyConcretizerINS_8FractionImLm1ELm1EEELln1EEEEELb1EEENS_9Iterators16numeric_iteratorIllPlEEZN8rajaperf5basic8TRAP_INT17runHipVariantRAJAILm256ENSM_13gpu_algorithm19block_device_helperENSM_11gpu_mapping20global_direct_helperEEEvNSM_9VariantIDEEUllE_lNS_4expt15ForallParamPackIJEEES6_SA_TnNSt9enable_ifIXaasr3std10is_base_ofINS5_10DirectBaseET4_EE5valuegtsrT5_10block_sizeLi0EEmE4typeELm256EEEvT1_T0_T2_T3_.numbered_sgpr, 28
	.set _ZN4RAJA6policy3hip4impl18forallp_hip_kernelINS1_8hip_execINS_17iteration_mapping6DirectENS_3hip11IndexGlobalILNS_9named_dimE0ELi256ELi0EEENS7_40AvoidDeviceMaxThreadOccupancyConcretizerINS7_34FractionOffsetOccupancyConcretizerINS_8FractionImLm1ELm1EEELln1EEEEELb1EEENS_9Iterators16numeric_iteratorIllPlEEZN8rajaperf5basic8TRAP_INT17runHipVariantRAJAILm256ENSM_13gpu_algorithm19block_device_helperENSM_11gpu_mapping20global_direct_helperEEEvNSM_9VariantIDEEUllE_lNS_4expt15ForallParamPackIJEEES6_SA_TnNSt9enable_ifIXaasr3std10is_base_ofINS5_10DirectBaseET4_EE5valuegtsrT5_10block_sizeLi0EEmE4typeELm256EEEvT1_T0_T2_T3_.num_named_barrier, 0
	.set _ZN4RAJA6policy3hip4impl18forallp_hip_kernelINS1_8hip_execINS_17iteration_mapping6DirectENS_3hip11IndexGlobalILNS_9named_dimE0ELi256ELi0EEENS7_40AvoidDeviceMaxThreadOccupancyConcretizerINS7_34FractionOffsetOccupancyConcretizerINS_8FractionImLm1ELm1EEELln1EEEEELb1EEENS_9Iterators16numeric_iteratorIllPlEEZN8rajaperf5basic8TRAP_INT17runHipVariantRAJAILm256ENSM_13gpu_algorithm19block_device_helperENSM_11gpu_mapping20global_direct_helperEEEvNSM_9VariantIDEEUllE_lNS_4expt15ForallParamPackIJEEES6_SA_TnNSt9enable_ifIXaasr3std10is_base_ofINS5_10DirectBaseET4_EE5valuegtsrT5_10block_sizeLi0EEmE4typeELm256EEEvT1_T0_T2_T3_.private_seg_size, 0
	.set _ZN4RAJA6policy3hip4impl18forallp_hip_kernelINS1_8hip_execINS_17iteration_mapping6DirectENS_3hip11IndexGlobalILNS_9named_dimE0ELi256ELi0EEENS7_40AvoidDeviceMaxThreadOccupancyConcretizerINS7_34FractionOffsetOccupancyConcretizerINS_8FractionImLm1ELm1EEELln1EEEEELb1EEENS_9Iterators16numeric_iteratorIllPlEEZN8rajaperf5basic8TRAP_INT17runHipVariantRAJAILm256ENSM_13gpu_algorithm19block_device_helperENSM_11gpu_mapping20global_direct_helperEEEvNSM_9VariantIDEEUllE_lNS_4expt15ForallParamPackIJEEES6_SA_TnNSt9enable_ifIXaasr3std10is_base_ofINS5_10DirectBaseET4_EE5valuegtsrT5_10block_sizeLi0EEmE4typeELm256EEEvT1_T0_T2_T3_.uses_vcc, 1
	.set _ZN4RAJA6policy3hip4impl18forallp_hip_kernelINS1_8hip_execINS_17iteration_mapping6DirectENS_3hip11IndexGlobalILNS_9named_dimE0ELi256ELi0EEENS7_40AvoidDeviceMaxThreadOccupancyConcretizerINS7_34FractionOffsetOccupancyConcretizerINS_8FractionImLm1ELm1EEELln1EEEEELb1EEENS_9Iterators16numeric_iteratorIllPlEEZN8rajaperf5basic8TRAP_INT17runHipVariantRAJAILm256ENSM_13gpu_algorithm19block_device_helperENSM_11gpu_mapping20global_direct_helperEEEvNSM_9VariantIDEEUllE_lNS_4expt15ForallParamPackIJEEES6_SA_TnNSt9enable_ifIXaasr3std10is_base_ofINS5_10DirectBaseET4_EE5valuegtsrT5_10block_sizeLi0EEmE4typeELm256EEEvT1_T0_T2_T3_.uses_flat_scratch, 0
	.set _ZN4RAJA6policy3hip4impl18forallp_hip_kernelINS1_8hip_execINS_17iteration_mapping6DirectENS_3hip11IndexGlobalILNS_9named_dimE0ELi256ELi0EEENS7_40AvoidDeviceMaxThreadOccupancyConcretizerINS7_34FractionOffsetOccupancyConcretizerINS_8FractionImLm1ELm1EEELln1EEEEELb1EEENS_9Iterators16numeric_iteratorIllPlEEZN8rajaperf5basic8TRAP_INT17runHipVariantRAJAILm256ENSM_13gpu_algorithm19block_device_helperENSM_11gpu_mapping20global_direct_helperEEEvNSM_9VariantIDEEUllE_lNS_4expt15ForallParamPackIJEEES6_SA_TnNSt9enable_ifIXaasr3std10is_base_ofINS5_10DirectBaseET4_EE5valuegtsrT5_10block_sizeLi0EEmE4typeELm256EEEvT1_T0_T2_T3_.has_dyn_sized_stack, 0
	.set _ZN4RAJA6policy3hip4impl18forallp_hip_kernelINS1_8hip_execINS_17iteration_mapping6DirectENS_3hip11IndexGlobalILNS_9named_dimE0ELi256ELi0EEENS7_40AvoidDeviceMaxThreadOccupancyConcretizerINS7_34FractionOffsetOccupancyConcretizerINS_8FractionImLm1ELm1EEELln1EEEEELb1EEENS_9Iterators16numeric_iteratorIllPlEEZN8rajaperf5basic8TRAP_INT17runHipVariantRAJAILm256ENSM_13gpu_algorithm19block_device_helperENSM_11gpu_mapping20global_direct_helperEEEvNSM_9VariantIDEEUllE_lNS_4expt15ForallParamPackIJEEES6_SA_TnNSt9enable_ifIXaasr3std10is_base_ofINS5_10DirectBaseET4_EE5valuegtsrT5_10block_sizeLi0EEmE4typeELm256EEEvT1_T0_T2_T3_.has_recursion, 0
	.set _ZN4RAJA6policy3hip4impl18forallp_hip_kernelINS1_8hip_execINS_17iteration_mapping6DirectENS_3hip11IndexGlobalILNS_9named_dimE0ELi256ELi0EEENS7_40AvoidDeviceMaxThreadOccupancyConcretizerINS7_34FractionOffsetOccupancyConcretizerINS_8FractionImLm1ELm1EEELln1EEEEELb1EEENS_9Iterators16numeric_iteratorIllPlEEZN8rajaperf5basic8TRAP_INT17runHipVariantRAJAILm256ENSM_13gpu_algorithm19block_device_helperENSM_11gpu_mapping20global_direct_helperEEEvNSM_9VariantIDEEUllE_lNS_4expt15ForallParamPackIJEEES6_SA_TnNSt9enable_ifIXaasr3std10is_base_ofINS5_10DirectBaseET4_EE5valuegtsrT5_10block_sizeLi0EEmE4typeELm256EEEvT1_T0_T2_T3_.has_indirect_call, 0
	.section	.AMDGPU.csdata,"",@progbits
; Kernel info:
; codeLenInByte = 3064
; TotalNumSgprs: 32
; NumVgprs: 20
; ScratchSize: 0
; MemoryBound: 0
; FloatMode: 240
; IeeeMode: 1
; LDSByteSize: 129 bytes/workgroup (compile time only)
; SGPRBlocks: 3
; VGPRBlocks: 4
; NumSGPRsForWavesPerEU: 32
; NumVGPRsForWavesPerEU: 20
; Occupancy: 10
; WaveLimiterHint : 1
; COMPUTE_PGM_RSRC2:SCRATCH_EN: 0
; COMPUTE_PGM_RSRC2:USER_SGPR: 6
; COMPUTE_PGM_RSRC2:TRAP_HANDLER: 0
; COMPUTE_PGM_RSRC2:TGID_X_EN: 1
; COMPUTE_PGM_RSRC2:TGID_Y_EN: 1
; COMPUTE_PGM_RSRC2:TGID_Z_EN: 1
; COMPUTE_PGM_RSRC2:TIDIG_COMP_CNT: 2
	.section	.text._ZN4RAJA6policy3hip4impl18forallp_hip_kernelINS1_8hip_execINS_17iteration_mapping6DirectENS_3hip11IndexGlobalILNS_9named_dimE0ELi256ELi0EEENS7_40AvoidDeviceMaxThreadOccupancyConcretizerINS7_34FractionOffsetOccupancyConcretizerINS_8FractionImLm1ELm1EEELln1EEEEELb1EEENS_9Iterators16numeric_iteratorIllPlEEZN8rajaperf5basic8TRAP_INT26runHipVariantRAJANewReduceILm256ENSM_11gpu_mapping20global_direct_helperEEEvNSM_9VariantIDEEUllRNS_4expt5ValOpIdNS_9operators4plusEEEE_lNST_15ForallParamPackIJNST_6detail7ReducerINSW_IdddEEdSX_EEEEES6_SA_TnNSt9enable_ifIXaasr3std10is_base_ofINS5_10DirectBaseET4_EE5valuegtsrT5_10block_sizeLi0EEmE4typeELm256EEEvT1_T0_T2_T3_,"axG",@progbits,_ZN4RAJA6policy3hip4impl18forallp_hip_kernelINS1_8hip_execINS_17iteration_mapping6DirectENS_3hip11IndexGlobalILNS_9named_dimE0ELi256ELi0EEENS7_40AvoidDeviceMaxThreadOccupancyConcretizerINS7_34FractionOffsetOccupancyConcretizerINS_8FractionImLm1ELm1EEELln1EEEEELb1EEENS_9Iterators16numeric_iteratorIllPlEEZN8rajaperf5basic8TRAP_INT26runHipVariantRAJANewReduceILm256ENSM_11gpu_mapping20global_direct_helperEEEvNSM_9VariantIDEEUllRNS_4expt5ValOpIdNS_9operators4plusEEEE_lNST_15ForallParamPackIJNST_6detail7ReducerINSW_IdddEEdSX_EEEEES6_SA_TnNSt9enable_ifIXaasr3std10is_base_ofINS5_10DirectBaseET4_EE5valuegtsrT5_10block_sizeLi0EEmE4typeELm256EEEvT1_T0_T2_T3_,comdat
	.protected	_ZN4RAJA6policy3hip4impl18forallp_hip_kernelINS1_8hip_execINS_17iteration_mapping6DirectENS_3hip11IndexGlobalILNS_9named_dimE0ELi256ELi0EEENS7_40AvoidDeviceMaxThreadOccupancyConcretizerINS7_34FractionOffsetOccupancyConcretizerINS_8FractionImLm1ELm1EEELln1EEEEELb1EEENS_9Iterators16numeric_iteratorIllPlEEZN8rajaperf5basic8TRAP_INT26runHipVariantRAJANewReduceILm256ENSM_11gpu_mapping20global_direct_helperEEEvNSM_9VariantIDEEUllRNS_4expt5ValOpIdNS_9operators4plusEEEE_lNST_15ForallParamPackIJNST_6detail7ReducerINSW_IdddEEdSX_EEEEES6_SA_TnNSt9enable_ifIXaasr3std10is_base_ofINS5_10DirectBaseET4_EE5valuegtsrT5_10block_sizeLi0EEmE4typeELm256EEEvT1_T0_T2_T3_ ; -- Begin function _ZN4RAJA6policy3hip4impl18forallp_hip_kernelINS1_8hip_execINS_17iteration_mapping6DirectENS_3hip11IndexGlobalILNS_9named_dimE0ELi256ELi0EEENS7_40AvoidDeviceMaxThreadOccupancyConcretizerINS7_34FractionOffsetOccupancyConcretizerINS_8FractionImLm1ELm1EEELln1EEEEELb1EEENS_9Iterators16numeric_iteratorIllPlEEZN8rajaperf5basic8TRAP_INT26runHipVariantRAJANewReduceILm256ENSM_11gpu_mapping20global_direct_helperEEEvNSM_9VariantIDEEUllRNS_4expt5ValOpIdNS_9operators4plusEEEE_lNST_15ForallParamPackIJNST_6detail7ReducerINSW_IdddEEdSX_EEEEES6_SA_TnNSt9enable_ifIXaasr3std10is_base_ofINS5_10DirectBaseET4_EE5valuegtsrT5_10block_sizeLi0EEmE4typeELm256EEEvT1_T0_T2_T3_
	.globl	_ZN4RAJA6policy3hip4impl18forallp_hip_kernelINS1_8hip_execINS_17iteration_mapping6DirectENS_3hip11IndexGlobalILNS_9named_dimE0ELi256ELi0EEENS7_40AvoidDeviceMaxThreadOccupancyConcretizerINS7_34FractionOffsetOccupancyConcretizerINS_8FractionImLm1ELm1EEELln1EEEEELb1EEENS_9Iterators16numeric_iteratorIllPlEEZN8rajaperf5basic8TRAP_INT26runHipVariantRAJANewReduceILm256ENSM_11gpu_mapping20global_direct_helperEEEvNSM_9VariantIDEEUllRNS_4expt5ValOpIdNS_9operators4plusEEEE_lNST_15ForallParamPackIJNST_6detail7ReducerINSW_IdddEEdSX_EEEEES6_SA_TnNSt9enable_ifIXaasr3std10is_base_ofINS5_10DirectBaseET4_EE5valuegtsrT5_10block_sizeLi0EEmE4typeELm256EEEvT1_T0_T2_T3_
	.p2align	8
	.type	_ZN4RAJA6policy3hip4impl18forallp_hip_kernelINS1_8hip_execINS_17iteration_mapping6DirectENS_3hip11IndexGlobalILNS_9named_dimE0ELi256ELi0EEENS7_40AvoidDeviceMaxThreadOccupancyConcretizerINS7_34FractionOffsetOccupancyConcretizerINS_8FractionImLm1ELm1EEELln1EEEEELb1EEENS_9Iterators16numeric_iteratorIllPlEEZN8rajaperf5basic8TRAP_INT26runHipVariantRAJANewReduceILm256ENSM_11gpu_mapping20global_direct_helperEEEvNSM_9VariantIDEEUllRNS_4expt5ValOpIdNS_9operators4plusEEEE_lNST_15ForallParamPackIJNST_6detail7ReducerINSW_IdddEEdSX_EEEEES6_SA_TnNSt9enable_ifIXaasr3std10is_base_ofINS5_10DirectBaseET4_EE5valuegtsrT5_10block_sizeLi0EEmE4typeELm256EEEvT1_T0_T2_T3_,@function
_ZN4RAJA6policy3hip4impl18forallp_hip_kernelINS1_8hip_execINS_17iteration_mapping6DirectENS_3hip11IndexGlobalILNS_9named_dimE0ELi256ELi0EEENS7_40AvoidDeviceMaxThreadOccupancyConcretizerINS7_34FractionOffsetOccupancyConcretizerINS_8FractionImLm1ELm1EEELln1EEEEELb1EEENS_9Iterators16numeric_iteratorIllPlEEZN8rajaperf5basic8TRAP_INT26runHipVariantRAJANewReduceILm256ENSM_11gpu_mapping20global_direct_helperEEEvNSM_9VariantIDEEUllRNS_4expt5ValOpIdNS_9operators4plusEEEE_lNST_15ForallParamPackIJNST_6detail7ReducerINSW_IdddEEdSX_EEEEES6_SA_TnNSt9enable_ifIXaasr3std10is_base_ofINS5_10DirectBaseET4_EE5valuegtsrT5_10block_sizeLi0EEmE4typeELm256EEEvT1_T0_T2_T3_: ; @_ZN4RAJA6policy3hip4impl18forallp_hip_kernelINS1_8hip_execINS_17iteration_mapping6DirectENS_3hip11IndexGlobalILNS_9named_dimE0ELi256ELi0EEENS7_40AvoidDeviceMaxThreadOccupancyConcretizerINS7_34FractionOffsetOccupancyConcretizerINS_8FractionImLm1ELm1EEELln1EEEEELb1EEENS_9Iterators16numeric_iteratorIllPlEEZN8rajaperf5basic8TRAP_INT26runHipVariantRAJANewReduceILm256ENSM_11gpu_mapping20global_direct_helperEEEvNSM_9VariantIDEEUllRNS_4expt5ValOpIdNS_9operators4plusEEEE_lNST_15ForallParamPackIJNST_6detail7ReducerINSW_IdddEEdSX_EEEEES6_SA_TnNSt9enable_ifIXaasr3std10is_base_ofINS5_10DirectBaseET4_EE5valuegtsrT5_10block_sizeLi0EEmE4typeELm256EEEvT1_T0_T2_T3_
; %bb.0:
	s_load_dwordx4 s[0:3], s[4:5], 0x28
	s_load_dwordx2 s[8:9], s[4:5], 0x38
	s_mov_b32 s7, 0
	s_lshl_b64 s[10:11], s[6:7], 8
	v_or_b32_e32 v3, s10, v0
	v_mov_b32_e32 v4, s11
	s_waitcnt lgkmcnt(0)
	v_cmp_gt_i64_e32 vcc, s[2:3], v[3:4]
	v_mov_b32_e32 v5, s8
	v_mov_b32_e32 v6, s9
	s_and_saveexec_b64 s[2:3], vcc
	s_cbranch_execz .LBB3_2
; %bb.1:
	v_mov_b32_e32 v5, s1
	v_add_co_u32_e32 v6, vcc, s0, v3
	v_addc_co_u32_e32 v3, vcc, v4, v5, vcc
	v_cvt_f64_i32_e32 v[3:4], v3
	v_cvt_f64_u32_e32 v[5:6], v6
	s_load_dwordx8 s[12:19], s[4:5], 0x0
	s_mov_b32 s0, 0
	v_ldexp_f64 v[3:4], v[3:4], 32
	s_brev_b32 s1, 8
	v_add_f64 v[3:4], v[3:4], v[5:6]
	s_waitcnt lgkmcnt(0)
	v_mov_b32_e32 v5, s12
	v_mov_b32_e32 v6, s13
	v_fma_f64 v[3:4], s[14:15], v[3:4], v[5:6]
	s_load_dwordx4 s[12:15], s[4:5], 0x18
	s_waitcnt lgkmcnt(0)
	v_mov_b32_e32 v5, s14
	v_mov_b32_e32 v6, s15
	v_add_f64 v[3:4], v[3:4], -s[12:13]
	v_add_f64 v[5:6], s[16:17], -v[5:6]
	v_mul_f64 v[3:4], v[3:4], v[3:4]
	v_fma_f64 v[3:4], v[5:6], v[5:6], v[3:4]
	v_mov_b32_e32 v5, 0x100
	v_cmp_gt_f64_e32 vcc, s[0:1], v[3:4]
	v_cndmask_b32_e32 v5, 0, v5, vcc
	v_ldexp_f64 v[3:4], v[3:4], v5
	v_rsq_f64_e32 v[5:6], v[3:4]
	v_mul_f64 v[7:8], v[3:4], v[5:6]
	v_mul_f64 v[5:6], v[5:6], 0.5
	v_fma_f64 v[9:10], -v[5:6], v[7:8], 0.5
	v_fma_f64 v[7:8], v[7:8], v[9:10], v[7:8]
	v_fma_f64 v[5:6], v[5:6], v[9:10], v[5:6]
	v_fma_f64 v[9:10], -v[7:8], v[7:8], v[3:4]
	v_fma_f64 v[7:8], v[9:10], v[5:6], v[7:8]
	v_fma_f64 v[9:10], -v[7:8], v[7:8], v[3:4]
	v_fma_f64 v[5:6], v[9:10], v[5:6], v[7:8]
	v_mov_b32_e32 v7, 0xffffff80
	v_mov_b32_e32 v8, 0x260
	v_cndmask_b32_e32 v7, 0, v7, vcc
	v_cmp_class_f64_e32 vcc, v[3:4], v8
	v_ldexp_f64 v[5:6], v[5:6], v7
	v_cndmask_b32_e32 v4, v6, v4, vcc
	v_cndmask_b32_e32 v3, v5, v3, vcc
	v_div_scale_f64 v[5:6], s[0:1], v[3:4], v[3:4], 1.0
	v_div_scale_f64 v[11:12], vcc, 1.0, v[3:4], 1.0
	v_rcp_f64_e32 v[7:8], v[5:6]
	v_fma_f64 v[9:10], -v[5:6], v[7:8], 1.0
	v_fma_f64 v[7:8], v[7:8], v[9:10], v[7:8]
	v_fma_f64 v[9:10], -v[5:6], v[7:8], 1.0
	v_fma_f64 v[7:8], v[7:8], v[9:10], v[7:8]
	v_mul_f64 v[9:10], v[11:12], v[7:8]
	v_fma_f64 v[5:6], -v[5:6], v[9:10], v[11:12]
	v_div_fmas_f64 v[5:6], v[5:6], v[7:8], v[9:10]
	v_div_fixup_f64 v[3:4], v[5:6], v[3:4], 1.0
	v_add_f64 v[5:6], s[8:9], v[3:4]
.LBB3_2:
	s_or_b64 exec, exec, s[2:3]
	v_mbcnt_lo_u32_b32 v3, -1, 0
	v_mbcnt_hi_u32_b32 v12, -1, v3
	v_and_b32_e32 v3, 64, v12
	v_add_u32_e32 v11, 64, v3
	v_xor_b32_e32 v3, 1, v12
	v_cmp_lt_i32_e32 vcc, v3, v11
	v_cndmask_b32_e32 v3, v12, v3, vcc
	v_lshlrev_b32_e32 v7, 2, v3
	ds_bpermute_b32 v3, v7, v5
	ds_bpermute_b32 v4, v7, v6
	s_load_dwordx4 s[8:11], s[4:5], 0x48
	s_load_dwordx2 s[14:15], s[4:5], 0x58
	s_add_u32 s12, s4, 0x60
	s_addc_u32 s13, s5, 0
	s_waitcnt lgkmcnt(0)
	v_add_f64 v[3:4], v[5:6], v[3:4]
	v_xor_b32_e32 v5, 2, v12
	v_cmp_lt_i32_e32 vcc, v5, v11
	v_cndmask_b32_e32 v5, v12, v5, vcc
	v_lshlrev_b32_e32 v5, 2, v5
	v_xor_b32_e32 v6, 4, v12
	v_cmp_lt_i32_e32 vcc, v6, v11
	v_cndmask_b32_e32 v6, v12, v6, vcc
	ds_bpermute_b32 v8, v5, v3
	ds_bpermute_b32 v9, v5, v4
	v_lshlrev_b32_e32 v6, 2, v6
	s_waitcnt lgkmcnt(0)
	v_add_f64 v[3:4], v[3:4], v[8:9]
	ds_bpermute_b32 v8, v6, v3
	ds_bpermute_b32 v9, v6, v4
	s_waitcnt lgkmcnt(0)
	v_add_f64 v[3:4], v[3:4], v[8:9]
	v_xor_b32_e32 v8, 8, v12
	v_cmp_lt_i32_e32 vcc, v8, v11
	v_cndmask_b32_e32 v8, v12, v8, vcc
	v_lshlrev_b32_e32 v8, 2, v8
	ds_bpermute_b32 v9, v8, v3
	ds_bpermute_b32 v10, v8, v4
	s_waitcnt lgkmcnt(0)
	v_add_f64 v[3:4], v[3:4], v[9:10]
	v_xor_b32_e32 v9, 16, v12
	v_cmp_lt_i32_e32 vcc, v9, v11
	v_cndmask_b32_e32 v9, v12, v9, vcc
	v_lshlrev_b32_e32 v10, 2, v9
	v_xor_b32_e32 v9, 32, v12
	v_cmp_lt_i32_e32 vcc, v9, v11
	v_cndmask_b32_e32 v9, v12, v9, vcc
	ds_bpermute_b32 v13, v10, v3
	ds_bpermute_b32 v14, v10, v4
	v_lshlrev_b32_e32 v11, 2, v9
	v_and_b32_e32 v9, 63, v0
	v_cmp_eq_u32_e64 s[0:1], 0, v9
	s_waitcnt lgkmcnt(0)
	v_add_f64 v[3:4], v[3:4], v[13:14]
	ds_bpermute_b32 v13, v11, v3
	ds_bpermute_b32 v14, v11, v4
	s_waitcnt lgkmcnt(0)
	v_add_f64 v[3:4], v[3:4], v[13:14]
	s_and_saveexec_b64 s[2:3], s[0:1]
; %bb.3:
	v_lshrrev_b32_e32 v13, 3, v0
	ds_write_b64 v13, v[3:4] offset:256
; %bb.4:
	s_or_b64 exec, exec, s[2:3]
	s_load_dword s18, s[4:5], 0x60
	v_cmp_gt_u32_e64 s[2:3], 64, v0
	s_waitcnt lgkmcnt(0)
	s_barrier
	s_and_saveexec_b64 s[4:5], s[2:3]
	s_cbranch_execz .LBB3_8
; %bb.5:
	v_mov_b32_e32 v3, 0
	v_mov_b32_e32 v4, 0
	v_cmp_gt_u32_e32 vcc, 4, v9
	s_and_saveexec_b64 s[16:17], vcc
; %bb.6:
	v_lshlrev_b32_e32 v3, 3, v9
	ds_read_b64 v[3:4], v3 offset:256
; %bb.7:
	s_or_b64 exec, exec, s[16:17]
	s_waitcnt lgkmcnt(0)
	ds_bpermute_b32 v13, v7, v3
	ds_bpermute_b32 v14, v7, v4
	s_waitcnt lgkmcnt(0)
	v_add_f64 v[3:4], v[3:4], v[13:14]
	ds_bpermute_b32 v13, v5, v3
	ds_bpermute_b32 v14, v5, v4
	s_waitcnt lgkmcnt(0)
	v_add_f64 v[3:4], v[3:4], v[13:14]
	;; [unrolled: 4-line block ×4, first 2 shown]
.LBB3_8:
	s_or_b64 exec, exec, s[4:5]
	v_mov_b32_e32 v13, 0
	v_cmp_eq_u32_e64 s[4:5], 0, v0
	v_mov_b32_e32 v14, 0
	s_barrier
	s_and_saveexec_b64 s[16:17], s[4:5]
	s_cbranch_execz .LBB3_10
; %bb.9:
	s_ashr_i32 s7, s6, 31
	s_add_i32 s19, s18, -1
	s_lshl_b64 s[20:21], s[6:7], 3
	s_add_u32 s20, s10, s20
	v_mov_b32_e32 v14, 0
	s_addc_u32 s21, s11, s21
	global_store_dwordx2 v14, v[3:4], s[20:21]
	v_mov_b32_e32 v3, s19
	s_waitcnt vmcnt(0)
	buffer_wbinvl1_vol
	global_atomic_inc v3, v14, v3, s[14:15] glc
	s_waitcnt vmcnt(0)
	v_cmp_eq_u32_e32 vcc, s19, v3
	v_cndmask_b32_e64 v14, 0, 1, vcc
.LBB3_10:
	s_or_b64 exec, exec, s[16:17]
	global_load_dword v3, v13, s[12:13] offset:14
	v_or_b32_dpp v4, v14, v14 row_shl:1 row_mask:0xf bank_mask:0xf bound_ctrl:1
	s_waitcnt vmcnt(0)
	v_readfirstlane_b32 s7, v3
	s_lshr_b32 s14, s7, 16
	s_and_b32 s7, s7, 0xffff
	s_cmp_lt_u32 s6, s18
	s_cselect_b32 s6, 12, 18
	s_add_u32 s12, s12, s6
	s_addc_u32 s13, s13, 0
	global_load_ushort v3, v13, s[12:13]
	v_or_b32_dpp v4, v4, v4 row_shl:2 row_mask:0xf bank_mask:0xf bound_ctrl:1
	s_waitcnt vmcnt(0)
	v_readfirstlane_b32 s13, v3
	v_or_b32_dpp v4, v4, v4 row_shl:4 row_mask:0xf bank_mask:0xf bound_ctrl:1
	s_mul_i32 s13, s7, s13
	s_bfe_i32 s13, s13, 0x180000
	v_or_b32_dpp v4, v4, v4 row_shl:8 row_mask:0xf bank_mask:0xf bound_ctrl:1
	s_mul_i32 s13, s13, s14
	s_add_i32 s13, s13, 63
	v_mov_b32_dpp v13, v4 wave_shl:1 row_mask:0xf bank_mask:0xf bound_ctrl:1
	s_bitcmp1_b32 exec_hi, 0
	s_nop 0
	v_or_b32_dpp v4, v13, v4 row_mirror row_mask:0xf bank_mask:0xf bound_ctrl:1
	v_readlane_b32 s6, v4, 32
	v_readlane_b32 s12, v4, 0
	s_cselect_b32 s6, s6, 0
	s_or_b32 s12, s6, s12
	s_andn2_b32 s13, s13, 63
	s_cmp_eq_u32 s13, 64
	v_mov_b32_e32 v4, s12
	s_cbranch_scc1 .LBB3_17
; %bb.11:
	v_mad_u32_u24 v1, v2, s7, v1
	v_mad_u64_u32 v[1:2], s[6:7], v1, v3, v[0:1]
	v_lshrrev_b32_e32 v2, 6, v1
	v_or_b32_e32 v2, v2, v12
	v_cmp_eq_u32_e32 vcc, 0, v2
	s_and_saveexec_b64 s[6:7], vcc
; %bb.12:
	v_mov_b32_e32 v2, 0
	v_mov_b32_e32 v3, s12
	ds_write_b32 v2, v3
; %bb.13:
	s_or_b64 exec, exec, s[6:7]
	v_cmp_eq_u32_e32 vcc, 0, v12
	v_cmp_lt_u32_e64 s[6:7], 63, v1
	s_and_b64 s[14:15], vcc, s[6:7]
	s_waitcnt lgkmcnt(0)
	s_barrier
	s_and_saveexec_b64 s[6:7], s[14:15]
	s_cbranch_execz .LBB3_16
; %bb.14:
	v_mbcnt_lo_u32_b32 v1, exec_lo, 0
	v_mbcnt_hi_u32_b32 v1, exec_hi, v1
	v_cmp_eq_u32_e32 vcc, 0, v1
	s_and_b64 exec, exec, vcc
; %bb.15:
	v_mov_b32_e32 v1, 0
	v_mov_b32_e32 v2, s12
	ds_or_b32 v1, v2
.LBB3_16:
	s_or_b64 exec, exec, s[6:7]
	v_mov_b32_e32 v1, 0
	s_waitcnt lgkmcnt(0)
	s_barrier
	ds_read_b32 v4, v1
	s_waitcnt lgkmcnt(0)
	s_barrier
.LBB3_17:
	v_cmp_eq_u32_e32 vcc, 0, v4
	s_cbranch_vccnz .LBB3_30
; %bb.18:
	v_mov_b32_e32 v1, 0
	v_mov_b32_e32 v2, 0
	v_cmp_gt_i32_e32 vcc, s18, v0
	buffer_wbinvl1_vol
	s_and_saveexec_b64 s[12:13], vcc
	s_cbranch_execz .LBB3_22
; %bb.19:
	v_lshlrev_b32_e32 v1, 3, v0
	v_mov_b32_e32 v2, s11
	v_add_co_u32_e32 v3, vcc, s10, v1
	v_addc_co_u32_e32 v4, vcc, 0, v2, vcc
	v_mov_b32_e32 v1, 0
	v_mov_b32_e32 v2, 0
	s_mov_b64 s[10:11], 0
	v_mov_b32_e32 v12, v0
.LBB3_20:                               ; =>This Inner Loop Header: Depth=1
	global_load_dwordx2 v[13:14], v[3:4], off
	v_add_u32_e32 v12, 0x100, v12
	v_add_co_u32_e32 v3, vcc, 0x800, v3
	v_cmp_le_i32_e64 s[6:7], s18, v12
	s_or_b64 s[10:11], s[6:7], s[10:11]
	v_addc_co_u32_e32 v4, vcc, 0, v4, vcc
	s_waitcnt vmcnt(0)
	v_add_f64 v[1:2], v[1:2], v[13:14]
	s_andn2_b64 exec, exec, s[10:11]
	s_cbranch_execnz .LBB3_20
; %bb.21:
	s_or_b64 exec, exec, s[10:11]
.LBB3_22:
	s_or_b64 exec, exec, s[12:13]
	ds_bpermute_b32 v3, v7, v1
	ds_bpermute_b32 v4, v7, v2
	s_waitcnt lgkmcnt(0)
	v_add_f64 v[1:2], v[1:2], v[3:4]
	ds_bpermute_b32 v3, v5, v1
	ds_bpermute_b32 v4, v5, v2
	s_waitcnt lgkmcnt(0)
	v_add_f64 v[1:2], v[1:2], v[3:4]
	;; [unrolled: 4-line block ×6, first 2 shown]
	s_and_saveexec_b64 s[6:7], s[0:1]
; %bb.23:
	v_lshrrev_b32_e32 v0, 3, v0
	ds_write_b64 v0, v[1:2] offset:256
; %bb.24:
	s_or_b64 exec, exec, s[6:7]
	s_waitcnt lgkmcnt(0)
	s_barrier
	s_and_saveexec_b64 s[0:1], s[2:3]
	s_cbranch_execz .LBB3_28
; %bb.25:
	v_mov_b32_e32 v0, 0
	v_mov_b32_e32 v1, 0
	v_cmp_gt_u32_e32 vcc, 4, v9
	s_and_saveexec_b64 s[2:3], vcc
; %bb.26:
	v_lshlrev_b32_e32 v0, 3, v9
	ds_read_b64 v[0:1], v0 offset:256
; %bb.27:
	s_or_b64 exec, exec, s[2:3]
	s_waitcnt lgkmcnt(0)
	ds_bpermute_b32 v2, v7, v0
	ds_bpermute_b32 v3, v7, v1
	s_waitcnt lgkmcnt(0)
	v_add_f64 v[0:1], v[0:1], v[2:3]
	ds_bpermute_b32 v2, v5, v0
	ds_bpermute_b32 v3, v5, v1
	s_waitcnt lgkmcnt(0)
	v_add_f64 v[0:1], v[0:1], v[2:3]
	;; [unrolled: 4-line block ×4, first 2 shown]
.LBB3_28:
	s_or_b64 exec, exec, s[0:1]
	s_barrier
	s_and_saveexec_b64 s[0:1], s[4:5]
	s_cbranch_execz .LBB3_30
; %bb.29:
	v_mov_b32_e32 v0, 0
	global_store_dwordx2 v0, v[1:2], s[8:9]
.LBB3_30:
	s_endpgm
	.section	.rodata,"a",@progbits
	.p2align	6, 0x0
	.amdhsa_kernel _ZN4RAJA6policy3hip4impl18forallp_hip_kernelINS1_8hip_execINS_17iteration_mapping6DirectENS_3hip11IndexGlobalILNS_9named_dimE0ELi256ELi0EEENS7_40AvoidDeviceMaxThreadOccupancyConcretizerINS7_34FractionOffsetOccupancyConcretizerINS_8FractionImLm1ELm1EEELln1EEEEELb1EEENS_9Iterators16numeric_iteratorIllPlEEZN8rajaperf5basic8TRAP_INT26runHipVariantRAJANewReduceILm256ENSM_11gpu_mapping20global_direct_helperEEEvNSM_9VariantIDEEUllRNS_4expt5ValOpIdNS_9operators4plusEEEE_lNST_15ForallParamPackIJNST_6detail7ReducerINSW_IdddEEdSX_EEEEES6_SA_TnNSt9enable_ifIXaasr3std10is_base_ofINS5_10DirectBaseET4_EE5valuegtsrT5_10block_sizeLi0EEmE4typeELm256EEEvT1_T0_T2_T3_
		.amdhsa_group_segment_fixed_size 384
		.amdhsa_private_segment_fixed_size 0
		.amdhsa_kernarg_size 352
		.amdhsa_user_sgpr_count 6
		.amdhsa_user_sgpr_private_segment_buffer 1
		.amdhsa_user_sgpr_dispatch_ptr 0
		.amdhsa_user_sgpr_queue_ptr 0
		.amdhsa_user_sgpr_kernarg_segment_ptr 1
		.amdhsa_user_sgpr_dispatch_id 0
		.amdhsa_user_sgpr_flat_scratch_init 0
		.amdhsa_user_sgpr_private_segment_size 0
		.amdhsa_uses_dynamic_stack 0
		.amdhsa_system_sgpr_private_segment_wavefront_offset 0
		.amdhsa_system_sgpr_workgroup_id_x 1
		.amdhsa_system_sgpr_workgroup_id_y 0
		.amdhsa_system_sgpr_workgroup_id_z 0
		.amdhsa_system_sgpr_workgroup_info 0
		.amdhsa_system_vgpr_workitem_id 2
		.amdhsa_next_free_vgpr 15
		.amdhsa_next_free_sgpr 22
		.amdhsa_reserve_vcc 1
		.amdhsa_reserve_flat_scratch 0
		.amdhsa_float_round_mode_32 0
		.amdhsa_float_round_mode_16_64 0
		.amdhsa_float_denorm_mode_32 3
		.amdhsa_float_denorm_mode_16_64 3
		.amdhsa_dx10_clamp 1
		.amdhsa_ieee_mode 1
		.amdhsa_fp16_overflow 0
		.amdhsa_exception_fp_ieee_invalid_op 0
		.amdhsa_exception_fp_denorm_src 0
		.amdhsa_exception_fp_ieee_div_zero 0
		.amdhsa_exception_fp_ieee_overflow 0
		.amdhsa_exception_fp_ieee_underflow 0
		.amdhsa_exception_fp_ieee_inexact 0
		.amdhsa_exception_int_div_zero 0
	.end_amdhsa_kernel
	.section	.text._ZN4RAJA6policy3hip4impl18forallp_hip_kernelINS1_8hip_execINS_17iteration_mapping6DirectENS_3hip11IndexGlobalILNS_9named_dimE0ELi256ELi0EEENS7_40AvoidDeviceMaxThreadOccupancyConcretizerINS7_34FractionOffsetOccupancyConcretizerINS_8FractionImLm1ELm1EEELln1EEEEELb1EEENS_9Iterators16numeric_iteratorIllPlEEZN8rajaperf5basic8TRAP_INT26runHipVariantRAJANewReduceILm256ENSM_11gpu_mapping20global_direct_helperEEEvNSM_9VariantIDEEUllRNS_4expt5ValOpIdNS_9operators4plusEEEE_lNST_15ForallParamPackIJNST_6detail7ReducerINSW_IdddEEdSX_EEEEES6_SA_TnNSt9enable_ifIXaasr3std10is_base_ofINS5_10DirectBaseET4_EE5valuegtsrT5_10block_sizeLi0EEmE4typeELm256EEEvT1_T0_T2_T3_,"axG",@progbits,_ZN4RAJA6policy3hip4impl18forallp_hip_kernelINS1_8hip_execINS_17iteration_mapping6DirectENS_3hip11IndexGlobalILNS_9named_dimE0ELi256ELi0EEENS7_40AvoidDeviceMaxThreadOccupancyConcretizerINS7_34FractionOffsetOccupancyConcretizerINS_8FractionImLm1ELm1EEELln1EEEEELb1EEENS_9Iterators16numeric_iteratorIllPlEEZN8rajaperf5basic8TRAP_INT26runHipVariantRAJANewReduceILm256ENSM_11gpu_mapping20global_direct_helperEEEvNSM_9VariantIDEEUllRNS_4expt5ValOpIdNS_9operators4plusEEEE_lNST_15ForallParamPackIJNST_6detail7ReducerINSW_IdddEEdSX_EEEEES6_SA_TnNSt9enable_ifIXaasr3std10is_base_ofINS5_10DirectBaseET4_EE5valuegtsrT5_10block_sizeLi0EEmE4typeELm256EEEvT1_T0_T2_T3_,comdat
.Lfunc_end3:
	.size	_ZN4RAJA6policy3hip4impl18forallp_hip_kernelINS1_8hip_execINS_17iteration_mapping6DirectENS_3hip11IndexGlobalILNS_9named_dimE0ELi256ELi0EEENS7_40AvoidDeviceMaxThreadOccupancyConcretizerINS7_34FractionOffsetOccupancyConcretizerINS_8FractionImLm1ELm1EEELln1EEEEELb1EEENS_9Iterators16numeric_iteratorIllPlEEZN8rajaperf5basic8TRAP_INT26runHipVariantRAJANewReduceILm256ENSM_11gpu_mapping20global_direct_helperEEEvNSM_9VariantIDEEUllRNS_4expt5ValOpIdNS_9operators4plusEEEE_lNST_15ForallParamPackIJNST_6detail7ReducerINSW_IdddEEdSX_EEEEES6_SA_TnNSt9enable_ifIXaasr3std10is_base_ofINS5_10DirectBaseET4_EE5valuegtsrT5_10block_sizeLi0EEmE4typeELm256EEEvT1_T0_T2_T3_, .Lfunc_end3-_ZN4RAJA6policy3hip4impl18forallp_hip_kernelINS1_8hip_execINS_17iteration_mapping6DirectENS_3hip11IndexGlobalILNS_9named_dimE0ELi256ELi0EEENS7_40AvoidDeviceMaxThreadOccupancyConcretizerINS7_34FractionOffsetOccupancyConcretizerINS_8FractionImLm1ELm1EEELln1EEEEELb1EEENS_9Iterators16numeric_iteratorIllPlEEZN8rajaperf5basic8TRAP_INT26runHipVariantRAJANewReduceILm256ENSM_11gpu_mapping20global_direct_helperEEEvNSM_9VariantIDEEUllRNS_4expt5ValOpIdNS_9operators4plusEEEE_lNST_15ForallParamPackIJNST_6detail7ReducerINSW_IdddEEdSX_EEEEES6_SA_TnNSt9enable_ifIXaasr3std10is_base_ofINS5_10DirectBaseET4_EE5valuegtsrT5_10block_sizeLi0EEmE4typeELm256EEEvT1_T0_T2_T3_
                                        ; -- End function
	.set _ZN4RAJA6policy3hip4impl18forallp_hip_kernelINS1_8hip_execINS_17iteration_mapping6DirectENS_3hip11IndexGlobalILNS_9named_dimE0ELi256ELi0EEENS7_40AvoidDeviceMaxThreadOccupancyConcretizerINS7_34FractionOffsetOccupancyConcretizerINS_8FractionImLm1ELm1EEELln1EEEEELb1EEENS_9Iterators16numeric_iteratorIllPlEEZN8rajaperf5basic8TRAP_INT26runHipVariantRAJANewReduceILm256ENSM_11gpu_mapping20global_direct_helperEEEvNSM_9VariantIDEEUllRNS_4expt5ValOpIdNS_9operators4plusEEEE_lNST_15ForallParamPackIJNST_6detail7ReducerINSW_IdddEEdSX_EEEEES6_SA_TnNSt9enable_ifIXaasr3std10is_base_ofINS5_10DirectBaseET4_EE5valuegtsrT5_10block_sizeLi0EEmE4typeELm256EEEvT1_T0_T2_T3_.num_vgpr, 15
	.set _ZN4RAJA6policy3hip4impl18forallp_hip_kernelINS1_8hip_execINS_17iteration_mapping6DirectENS_3hip11IndexGlobalILNS_9named_dimE0ELi256ELi0EEENS7_40AvoidDeviceMaxThreadOccupancyConcretizerINS7_34FractionOffsetOccupancyConcretizerINS_8FractionImLm1ELm1EEELln1EEEEELb1EEENS_9Iterators16numeric_iteratorIllPlEEZN8rajaperf5basic8TRAP_INT26runHipVariantRAJANewReduceILm256ENSM_11gpu_mapping20global_direct_helperEEEvNSM_9VariantIDEEUllRNS_4expt5ValOpIdNS_9operators4plusEEEE_lNST_15ForallParamPackIJNST_6detail7ReducerINSW_IdddEEdSX_EEEEES6_SA_TnNSt9enable_ifIXaasr3std10is_base_ofINS5_10DirectBaseET4_EE5valuegtsrT5_10block_sizeLi0EEmE4typeELm256EEEvT1_T0_T2_T3_.num_agpr, 0
	.set _ZN4RAJA6policy3hip4impl18forallp_hip_kernelINS1_8hip_execINS_17iteration_mapping6DirectENS_3hip11IndexGlobalILNS_9named_dimE0ELi256ELi0EEENS7_40AvoidDeviceMaxThreadOccupancyConcretizerINS7_34FractionOffsetOccupancyConcretizerINS_8FractionImLm1ELm1EEELln1EEEEELb1EEENS_9Iterators16numeric_iteratorIllPlEEZN8rajaperf5basic8TRAP_INT26runHipVariantRAJANewReduceILm256ENSM_11gpu_mapping20global_direct_helperEEEvNSM_9VariantIDEEUllRNS_4expt5ValOpIdNS_9operators4plusEEEE_lNST_15ForallParamPackIJNST_6detail7ReducerINSW_IdddEEdSX_EEEEES6_SA_TnNSt9enable_ifIXaasr3std10is_base_ofINS5_10DirectBaseET4_EE5valuegtsrT5_10block_sizeLi0EEmE4typeELm256EEEvT1_T0_T2_T3_.numbered_sgpr, 22
	.set _ZN4RAJA6policy3hip4impl18forallp_hip_kernelINS1_8hip_execINS_17iteration_mapping6DirectENS_3hip11IndexGlobalILNS_9named_dimE0ELi256ELi0EEENS7_40AvoidDeviceMaxThreadOccupancyConcretizerINS7_34FractionOffsetOccupancyConcretizerINS_8FractionImLm1ELm1EEELln1EEEEELb1EEENS_9Iterators16numeric_iteratorIllPlEEZN8rajaperf5basic8TRAP_INT26runHipVariantRAJANewReduceILm256ENSM_11gpu_mapping20global_direct_helperEEEvNSM_9VariantIDEEUllRNS_4expt5ValOpIdNS_9operators4plusEEEE_lNST_15ForallParamPackIJNST_6detail7ReducerINSW_IdddEEdSX_EEEEES6_SA_TnNSt9enable_ifIXaasr3std10is_base_ofINS5_10DirectBaseET4_EE5valuegtsrT5_10block_sizeLi0EEmE4typeELm256EEEvT1_T0_T2_T3_.num_named_barrier, 0
	.set _ZN4RAJA6policy3hip4impl18forallp_hip_kernelINS1_8hip_execINS_17iteration_mapping6DirectENS_3hip11IndexGlobalILNS_9named_dimE0ELi256ELi0EEENS7_40AvoidDeviceMaxThreadOccupancyConcretizerINS7_34FractionOffsetOccupancyConcretizerINS_8FractionImLm1ELm1EEELln1EEEEELb1EEENS_9Iterators16numeric_iteratorIllPlEEZN8rajaperf5basic8TRAP_INT26runHipVariantRAJANewReduceILm256ENSM_11gpu_mapping20global_direct_helperEEEvNSM_9VariantIDEEUllRNS_4expt5ValOpIdNS_9operators4plusEEEE_lNST_15ForallParamPackIJNST_6detail7ReducerINSW_IdddEEdSX_EEEEES6_SA_TnNSt9enable_ifIXaasr3std10is_base_ofINS5_10DirectBaseET4_EE5valuegtsrT5_10block_sizeLi0EEmE4typeELm256EEEvT1_T0_T2_T3_.private_seg_size, 0
	.set _ZN4RAJA6policy3hip4impl18forallp_hip_kernelINS1_8hip_execINS_17iteration_mapping6DirectENS_3hip11IndexGlobalILNS_9named_dimE0ELi256ELi0EEENS7_40AvoidDeviceMaxThreadOccupancyConcretizerINS7_34FractionOffsetOccupancyConcretizerINS_8FractionImLm1ELm1EEELln1EEEEELb1EEENS_9Iterators16numeric_iteratorIllPlEEZN8rajaperf5basic8TRAP_INT26runHipVariantRAJANewReduceILm256ENSM_11gpu_mapping20global_direct_helperEEEvNSM_9VariantIDEEUllRNS_4expt5ValOpIdNS_9operators4plusEEEE_lNST_15ForallParamPackIJNST_6detail7ReducerINSW_IdddEEdSX_EEEEES6_SA_TnNSt9enable_ifIXaasr3std10is_base_ofINS5_10DirectBaseET4_EE5valuegtsrT5_10block_sizeLi0EEmE4typeELm256EEEvT1_T0_T2_T3_.uses_vcc, 1
	.set _ZN4RAJA6policy3hip4impl18forallp_hip_kernelINS1_8hip_execINS_17iteration_mapping6DirectENS_3hip11IndexGlobalILNS_9named_dimE0ELi256ELi0EEENS7_40AvoidDeviceMaxThreadOccupancyConcretizerINS7_34FractionOffsetOccupancyConcretizerINS_8FractionImLm1ELm1EEELln1EEEEELb1EEENS_9Iterators16numeric_iteratorIllPlEEZN8rajaperf5basic8TRAP_INT26runHipVariantRAJANewReduceILm256ENSM_11gpu_mapping20global_direct_helperEEEvNSM_9VariantIDEEUllRNS_4expt5ValOpIdNS_9operators4plusEEEE_lNST_15ForallParamPackIJNST_6detail7ReducerINSW_IdddEEdSX_EEEEES6_SA_TnNSt9enable_ifIXaasr3std10is_base_ofINS5_10DirectBaseET4_EE5valuegtsrT5_10block_sizeLi0EEmE4typeELm256EEEvT1_T0_T2_T3_.uses_flat_scratch, 0
	.set _ZN4RAJA6policy3hip4impl18forallp_hip_kernelINS1_8hip_execINS_17iteration_mapping6DirectENS_3hip11IndexGlobalILNS_9named_dimE0ELi256ELi0EEENS7_40AvoidDeviceMaxThreadOccupancyConcretizerINS7_34FractionOffsetOccupancyConcretizerINS_8FractionImLm1ELm1EEELln1EEEEELb1EEENS_9Iterators16numeric_iteratorIllPlEEZN8rajaperf5basic8TRAP_INT26runHipVariantRAJANewReduceILm256ENSM_11gpu_mapping20global_direct_helperEEEvNSM_9VariantIDEEUllRNS_4expt5ValOpIdNS_9operators4plusEEEE_lNST_15ForallParamPackIJNST_6detail7ReducerINSW_IdddEEdSX_EEEEES6_SA_TnNSt9enable_ifIXaasr3std10is_base_ofINS5_10DirectBaseET4_EE5valuegtsrT5_10block_sizeLi0EEmE4typeELm256EEEvT1_T0_T2_T3_.has_dyn_sized_stack, 0
	.set _ZN4RAJA6policy3hip4impl18forallp_hip_kernelINS1_8hip_execINS_17iteration_mapping6DirectENS_3hip11IndexGlobalILNS_9named_dimE0ELi256ELi0EEENS7_40AvoidDeviceMaxThreadOccupancyConcretizerINS7_34FractionOffsetOccupancyConcretizerINS_8FractionImLm1ELm1EEELln1EEEEELb1EEENS_9Iterators16numeric_iteratorIllPlEEZN8rajaperf5basic8TRAP_INT26runHipVariantRAJANewReduceILm256ENSM_11gpu_mapping20global_direct_helperEEEvNSM_9VariantIDEEUllRNS_4expt5ValOpIdNS_9operators4plusEEEE_lNST_15ForallParamPackIJNST_6detail7ReducerINSW_IdddEEdSX_EEEEES6_SA_TnNSt9enable_ifIXaasr3std10is_base_ofINS5_10DirectBaseET4_EE5valuegtsrT5_10block_sizeLi0EEmE4typeELm256EEEvT1_T0_T2_T3_.has_recursion, 0
	.set _ZN4RAJA6policy3hip4impl18forallp_hip_kernelINS1_8hip_execINS_17iteration_mapping6DirectENS_3hip11IndexGlobalILNS_9named_dimE0ELi256ELi0EEENS7_40AvoidDeviceMaxThreadOccupancyConcretizerINS7_34FractionOffsetOccupancyConcretizerINS_8FractionImLm1ELm1EEELln1EEEEELb1EEENS_9Iterators16numeric_iteratorIllPlEEZN8rajaperf5basic8TRAP_INT26runHipVariantRAJANewReduceILm256ENSM_11gpu_mapping20global_direct_helperEEEvNSM_9VariantIDEEUllRNS_4expt5ValOpIdNS_9operators4plusEEEE_lNST_15ForallParamPackIJNST_6detail7ReducerINSW_IdddEEdSX_EEEEES6_SA_TnNSt9enable_ifIXaasr3std10is_base_ofINS5_10DirectBaseET4_EE5valuegtsrT5_10block_sizeLi0EEmE4typeELm256EEEvT1_T0_T2_T3_.has_indirect_call, 0
	.section	.AMDGPU.csdata,"",@progbits
; Kernel info:
; codeLenInByte = 1904
; TotalNumSgprs: 26
; NumVgprs: 15
; ScratchSize: 0
; MemoryBound: 0
; FloatMode: 240
; IeeeMode: 1
; LDSByteSize: 384 bytes/workgroup (compile time only)
; SGPRBlocks: 3
; VGPRBlocks: 3
; NumSGPRsForWavesPerEU: 26
; NumVGPRsForWavesPerEU: 15
; Occupancy: 10
; WaveLimiterHint : 0
; COMPUTE_PGM_RSRC2:SCRATCH_EN: 0
; COMPUTE_PGM_RSRC2:USER_SGPR: 6
; COMPUTE_PGM_RSRC2:TRAP_HANDLER: 0
; COMPUTE_PGM_RSRC2:TGID_X_EN: 1
; COMPUTE_PGM_RSRC2:TGID_Y_EN: 0
; COMPUTE_PGM_RSRC2:TGID_Z_EN: 0
; COMPUTE_PGM_RSRC2:TIDIG_COMP_CNT: 2
	.section	.text._ZN4RAJA6policy3hip4impl18forallp_hip_kernelINS1_8hip_execINS_17iteration_mapping11StridedLoopILm0EEENS_3hip11IndexGlobalILNS_9named_dimE0ELi256ELi0EEENS8_40AvoidDeviceMaxThreadOccupancyConcretizerINS8_34FractionOffsetOccupancyConcretizerINS_8FractionImLm1ELm1EEELln1EEEEELb1EEENS_9Iterators16numeric_iteratorIllPlEEZN8rajaperf5basic8TRAP_INT17runHipVariantRAJAILm256ENSN_13gpu_algorithm19block_atomic_helperENSN_11gpu_mapping40global_loop_occupancy_grid_stride_helperEEEvNSN_9VariantIDEEUllE_lNS_4expt15ForallParamPackIJEEES7_SB_TnNSt9enable_ifIXaaaasr3std10is_base_ofINS5_15StridedLoopBaseET4_EE5valuesr3std10is_base_ofINS5_15UnsizedLoopBaseES12_EE5valuegtsrT5_10block_sizeLi0EEmE4typeELm256EEEvT1_T0_T2_T3_,"axG",@progbits,_ZN4RAJA6policy3hip4impl18forallp_hip_kernelINS1_8hip_execINS_17iteration_mapping11StridedLoopILm0EEENS_3hip11IndexGlobalILNS_9named_dimE0ELi256ELi0EEENS8_40AvoidDeviceMaxThreadOccupancyConcretizerINS8_34FractionOffsetOccupancyConcretizerINS_8FractionImLm1ELm1EEELln1EEEEELb1EEENS_9Iterators16numeric_iteratorIllPlEEZN8rajaperf5basic8TRAP_INT17runHipVariantRAJAILm256ENSN_13gpu_algorithm19block_atomic_helperENSN_11gpu_mapping40global_loop_occupancy_grid_stride_helperEEEvNSN_9VariantIDEEUllE_lNS_4expt15ForallParamPackIJEEES7_SB_TnNSt9enable_ifIXaaaasr3std10is_base_ofINS5_15StridedLoopBaseET4_EE5valuesr3std10is_base_ofINS5_15UnsizedLoopBaseES12_EE5valuegtsrT5_10block_sizeLi0EEmE4typeELm256EEEvT1_T0_T2_T3_,comdat
	.protected	_ZN4RAJA6policy3hip4impl18forallp_hip_kernelINS1_8hip_execINS_17iteration_mapping11StridedLoopILm0EEENS_3hip11IndexGlobalILNS_9named_dimE0ELi256ELi0EEENS8_40AvoidDeviceMaxThreadOccupancyConcretizerINS8_34FractionOffsetOccupancyConcretizerINS_8FractionImLm1ELm1EEELln1EEEEELb1EEENS_9Iterators16numeric_iteratorIllPlEEZN8rajaperf5basic8TRAP_INT17runHipVariantRAJAILm256ENSN_13gpu_algorithm19block_atomic_helperENSN_11gpu_mapping40global_loop_occupancy_grid_stride_helperEEEvNSN_9VariantIDEEUllE_lNS_4expt15ForallParamPackIJEEES7_SB_TnNSt9enable_ifIXaaaasr3std10is_base_ofINS5_15StridedLoopBaseET4_EE5valuesr3std10is_base_ofINS5_15UnsizedLoopBaseES12_EE5valuegtsrT5_10block_sizeLi0EEmE4typeELm256EEEvT1_T0_T2_T3_ ; -- Begin function _ZN4RAJA6policy3hip4impl18forallp_hip_kernelINS1_8hip_execINS_17iteration_mapping11StridedLoopILm0EEENS_3hip11IndexGlobalILNS_9named_dimE0ELi256ELi0EEENS8_40AvoidDeviceMaxThreadOccupancyConcretizerINS8_34FractionOffsetOccupancyConcretizerINS_8FractionImLm1ELm1EEELln1EEEEELb1EEENS_9Iterators16numeric_iteratorIllPlEEZN8rajaperf5basic8TRAP_INT17runHipVariantRAJAILm256ENSN_13gpu_algorithm19block_atomic_helperENSN_11gpu_mapping40global_loop_occupancy_grid_stride_helperEEEvNSN_9VariantIDEEUllE_lNS_4expt15ForallParamPackIJEEES7_SB_TnNSt9enable_ifIXaaaasr3std10is_base_ofINS5_15StridedLoopBaseET4_EE5valuesr3std10is_base_ofINS5_15UnsizedLoopBaseES12_EE5valuegtsrT5_10block_sizeLi0EEmE4typeELm256EEEvT1_T0_T2_T3_
	.globl	_ZN4RAJA6policy3hip4impl18forallp_hip_kernelINS1_8hip_execINS_17iteration_mapping11StridedLoopILm0EEENS_3hip11IndexGlobalILNS_9named_dimE0ELi256ELi0EEENS8_40AvoidDeviceMaxThreadOccupancyConcretizerINS8_34FractionOffsetOccupancyConcretizerINS_8FractionImLm1ELm1EEELln1EEEEELb1EEENS_9Iterators16numeric_iteratorIllPlEEZN8rajaperf5basic8TRAP_INT17runHipVariantRAJAILm256ENSN_13gpu_algorithm19block_atomic_helperENSN_11gpu_mapping40global_loop_occupancy_grid_stride_helperEEEvNSN_9VariantIDEEUllE_lNS_4expt15ForallParamPackIJEEES7_SB_TnNSt9enable_ifIXaaaasr3std10is_base_ofINS5_15StridedLoopBaseET4_EE5valuesr3std10is_base_ofINS5_15UnsizedLoopBaseES12_EE5valuegtsrT5_10block_sizeLi0EEmE4typeELm256EEEvT1_T0_T2_T3_
	.p2align	8
	.type	_ZN4RAJA6policy3hip4impl18forallp_hip_kernelINS1_8hip_execINS_17iteration_mapping11StridedLoopILm0EEENS_3hip11IndexGlobalILNS_9named_dimE0ELi256ELi0EEENS8_40AvoidDeviceMaxThreadOccupancyConcretizerINS8_34FractionOffsetOccupancyConcretizerINS_8FractionImLm1ELm1EEELln1EEEEELb1EEENS_9Iterators16numeric_iteratorIllPlEEZN8rajaperf5basic8TRAP_INT17runHipVariantRAJAILm256ENSN_13gpu_algorithm19block_atomic_helperENSN_11gpu_mapping40global_loop_occupancy_grid_stride_helperEEEvNSN_9VariantIDEEUllE_lNS_4expt15ForallParamPackIJEEES7_SB_TnNSt9enable_ifIXaaaasr3std10is_base_ofINS5_15StridedLoopBaseET4_EE5valuesr3std10is_base_ofINS5_15UnsizedLoopBaseES12_EE5valuegtsrT5_10block_sizeLi0EEmE4typeELm256EEEvT1_T0_T2_T3_,@function
_ZN4RAJA6policy3hip4impl18forallp_hip_kernelINS1_8hip_execINS_17iteration_mapping11StridedLoopILm0EEENS_3hip11IndexGlobalILNS_9named_dimE0ELi256ELi0EEENS8_40AvoidDeviceMaxThreadOccupancyConcretizerINS8_34FractionOffsetOccupancyConcretizerINS_8FractionImLm1ELm1EEELln1EEEEELb1EEENS_9Iterators16numeric_iteratorIllPlEEZN8rajaperf5basic8TRAP_INT17runHipVariantRAJAILm256ENSN_13gpu_algorithm19block_atomic_helperENSN_11gpu_mapping40global_loop_occupancy_grid_stride_helperEEEvNSN_9VariantIDEEUllE_lNS_4expt15ForallParamPackIJEEES7_SB_TnNSt9enable_ifIXaaaasr3std10is_base_ofINS5_15StridedLoopBaseET4_EE5valuesr3std10is_base_ofINS5_15UnsizedLoopBaseES12_EE5valuegtsrT5_10block_sizeLi0EEmE4typeELm256EEEvT1_T0_T2_T3_: ; @_ZN4RAJA6policy3hip4impl18forallp_hip_kernelINS1_8hip_execINS_17iteration_mapping11StridedLoopILm0EEENS_3hip11IndexGlobalILNS_9named_dimE0ELi256ELi0EEENS8_40AvoidDeviceMaxThreadOccupancyConcretizerINS8_34FractionOffsetOccupancyConcretizerINS_8FractionImLm1ELm1EEELln1EEEEELb1EEENS_9Iterators16numeric_iteratorIllPlEEZN8rajaperf5basic8TRAP_INT17runHipVariantRAJAILm256ENSN_13gpu_algorithm19block_atomic_helperENSN_11gpu_mapping40global_loop_occupancy_grid_stride_helperEEEvNSN_9VariantIDEEUllE_lNS_4expt15ForallParamPackIJEEES7_SB_TnNSt9enable_ifIXaaaasr3std10is_base_ofINS5_15StridedLoopBaseET4_EE5valuesr3std10is_base_ofINS5_15UnsizedLoopBaseES12_EE5valuegtsrT5_10block_sizeLi0EEmE4typeELm256EEEvT1_T0_T2_T3_
; %bb.0:
	s_load_dwordx8 s[12:19], s[4:5], 0x0
	s_load_dwordx4 s[20:23], s[4:5], 0x50
	s_load_dwordx2 s[2:3], s[4:5], 0x28
	s_mov_b32 s0, s7
	s_mov_b32 s7, 0
	s_lshl_b64 s[10:11], s[6:7], 8
	v_or_b32_e32 v5, s10, v0
	v_mov_b32_e32 v6, s11
	s_waitcnt lgkmcnt(0)
	v_cmp_gt_i64_e32 vcc, s[22:23], v[5:6]
	v_mov_b32_e32 v4, s3
	v_mov_b32_e32 v3, s2
	s_and_saveexec_b64 s[10:11], vcc
	s_cbranch_execz .LBB4_4
; %bb.1:
	s_load_dwordx2 s[28:29], s[4:5], 0x48
	s_load_dwordx4 s[24:27], s[4:5], 0x38
	v_mov_b32_e32 v9, s12
	v_mov_b32_e32 v10, s13
	s_mov_b32 s12, 0
	s_waitcnt lgkmcnt(0)
	v_mov_b32_e32 v3, s28
	v_mov_b32_e32 v4, s29
	v_add_f64 v[7:8], s[24:25], -v[3:4]
	s_load_dword s28, s[4:5], 0x68
	s_mov_b32 s29, s7
	v_mov_b32_e32 v4, s3
	s_mov_b64 s[24:25], 0
	v_mov_b32_e32 v3, s2
	s_waitcnt lgkmcnt(0)
	s_lshl_b64 s[28:29], s[28:29], 8
	v_mov_b32_e32 v11, s21
	v_mul_f64 v[7:8], v[7:8], v[7:8]
	s_brev_b32 s13, 8
	v_mov_b32_e32 v12, 0x100
	v_mov_b32_e32 v13, 0xffffff80
	;; [unrolled: 1-line block ×4, first 2 shown]
.LBB4_2:                                ; =>This Inner Loop Header: Depth=1
	v_add_co_u32_e32 v18, vcc, s20, v5
	v_addc_co_u32_e32 v16, vcc, v11, v6, vcc
	v_cvt_f64_i32_e32 v[16:17], v16
	v_cvt_f64_u32_e32 v[18:19], v18
	v_ldexp_f64 v[16:17], v[16:17], 32
	v_add_f64 v[16:17], v[16:17], v[18:19]
	v_fma_f64 v[16:17], s[14:15], v[16:17], v[9:10]
	v_add_f64 v[16:17], v[16:17], -s[26:27]
	v_fma_f64 v[16:17], v[16:17], v[16:17], v[7:8]
	v_cmp_gt_f64_e32 vcc, s[12:13], v[16:17]
	v_cndmask_b32_e32 v18, 0, v12, vcc
	v_ldexp_f64 v[16:17], v[16:17], v18
	v_rsq_f64_e32 v[18:19], v[16:17]
	v_mul_f64 v[20:21], v[16:17], v[18:19]
	v_mul_f64 v[18:19], v[18:19], 0.5
	v_fma_f64 v[22:23], -v[18:19], v[20:21], 0.5
	v_fma_f64 v[20:21], v[20:21], v[22:23], v[20:21]
	v_fma_f64 v[18:19], v[18:19], v[22:23], v[18:19]
	v_fma_f64 v[22:23], -v[20:21], v[20:21], v[16:17]
	v_fma_f64 v[20:21], v[22:23], v[18:19], v[20:21]
	v_fma_f64 v[22:23], -v[20:21], v[20:21], v[16:17]
	v_fma_f64 v[18:19], v[22:23], v[18:19], v[20:21]
	v_cndmask_b32_e32 v20, 0, v13, vcc
	v_cmp_class_f64_e32 vcc, v[16:17], v14
	v_ldexp_f64 v[18:19], v[18:19], v20
	v_cndmask_b32_e32 v17, v19, v17, vcc
	v_cndmask_b32_e32 v16, v18, v16, vcc
	v_div_scale_f64 v[18:19], s[30:31], v[16:17], v[16:17], 1.0
	v_rcp_f64_e32 v[20:21], v[18:19]
	v_fma_f64 v[22:23], -v[18:19], v[20:21], 1.0
	v_fma_f64 v[20:21], v[20:21], v[22:23], v[20:21]
	v_div_scale_f64 v[22:23], vcc, 1.0, v[16:17], 1.0
	v_fma_f64 v[24:25], -v[18:19], v[20:21], 1.0
	v_fma_f64 v[20:21], v[20:21], v[24:25], v[20:21]
	v_mul_f64 v[24:25], v[22:23], v[20:21]
	v_fma_f64 v[18:19], -v[18:19], v[24:25], v[22:23]
	v_div_fmas_f64 v[18:19], v[18:19], v[20:21], v[24:25]
	v_add_co_u32_e32 v5, vcc, s28, v5
	v_addc_co_u32_e32 v6, vcc, v6, v15, vcc
	v_cmp_le_i64_e32 vcc, s[22:23], v[5:6]
	s_or_b64 s[24:25], vcc, s[24:25]
	v_div_fixup_f64 v[16:17], v[18:19], v[16:17], 1.0
	v_add_f64 v[3:4], v[3:4], v[16:17]
	s_andn2_b64 exec, exec, s[24:25]
	s_cbranch_execnz .LBB4_2
; %bb.3:
	s_or_b64 exec, exec, s[24:25]
.LBB4_4:
	s_or_b64 exec, exec, s[10:11]
	s_cmp_lg_u64 s[16:17], 0
	s_cbranch_scc1 .LBB4_19
; %bb.5:
	s_load_dwordx2 s[10:11], s[4:5], 0x68
	s_add_u32 s1, s4, 0x68
	v_mov_b32_e32 v5, 0
	s_addc_u32 s7, s5, 0
	global_load_dword v6, v5, s[4:5] offset:118
	s_waitcnt lgkmcnt(0)
	s_cmp_lt_u32 s6, s10
	s_cselect_b32 s4, 12, 18
	s_add_u32 s4, s1, s4
	s_addc_u32 s5, s7, 0
	global_load_ushort v5, v5, s[4:5]
	v_mbcnt_lo_u32_b32 v9, -1, 0
	v_mbcnt_hi_u32_b32 v9, -1, v9
	s_waitcnt vmcnt(1)
	v_readfirstlane_b32 s1, v6
	s_lshr_b32 s4, s1, 16
	s_and_b32 s1, s1, 0xffff
	s_waitcnt vmcnt(0)
	v_readfirstlane_b32 s5, v5
	s_mul_i32 s1, s1, s5
	v_mul_lo_u32 v8, s1, v2
	v_mad_u32_u24 v7, v1, v5, v0
	s_mul_i32 s4, s1, s4
	s_ashr_i32 s5, s4, 31
	s_and_b32 s1, s4, 63
	v_add_u32_e32 v2, v8, v7
	s_cmp_eq_u32 s1, 0
	v_ashrrev_i32_e32 v1, 31, v2
	s_cbranch_scc1 .LBB4_20
; %bb.6:
	v_and_b32_e32 v0, 64, v9
	v_xor_b32_e32 v10, 1, v2
	v_and_or_b32 v5, v10, 63, v0
	v_lshlrev_b32_e32 v6, 2, v5
	ds_bpermute_b32 v5, v6, v3
	ds_bpermute_b32 v6, v6, v4
	v_xor_b32_e32 v12, 2, v2
	v_and_or_b32 v11, v12, 63, v0
	v_cmp_gt_i32_e32 vcc, s4, v10
	v_lshlrev_b32_e32 v11, 2, v11
	s_waitcnt lgkmcnt(0)
	v_add_f64 v[5:6], v[3:4], v[5:6]
	v_xor_b32_e32 v13, 4, v2
	v_and_or_b32 v14, v13, 63, v0
	v_lshlrev_b32_e32 v14, 2, v14
	v_cndmask_b32_e32 v6, v4, v6, vcc
	v_cndmask_b32_e32 v5, v3, v5, vcc
	ds_bpermute_b32 v10, v11, v5
	ds_bpermute_b32 v11, v11, v6
	v_cmp_gt_i32_e32 vcc, s4, v12
	v_xor_b32_e32 v12, 8, v2
	s_waitcnt lgkmcnt(0)
	v_add_f64 v[10:11], v[5:6], v[10:11]
	v_cndmask_b32_e32 v6, v6, v11, vcc
	v_cndmask_b32_e32 v5, v5, v10, vcc
	ds_bpermute_b32 v10, v14, v5
	ds_bpermute_b32 v11, v14, v6
	v_and_or_b32 v14, v12, 63, v0
	v_cmp_gt_i32_e32 vcc, s4, v13
	v_lshlrev_b32_e32 v14, 2, v14
	v_xor_b32_e32 v13, 16, v2
	s_waitcnt lgkmcnt(0)
	v_add_f64 v[10:11], v[5:6], v[10:11]
	v_cndmask_b32_e32 v6, v6, v11, vcc
	v_cndmask_b32_e32 v5, v5, v10, vcc
	ds_bpermute_b32 v10, v14, v5
	ds_bpermute_b32 v11, v14, v6
	v_and_or_b32 v14, v13, 63, v0
	v_cmp_gt_i32_e32 vcc, s4, v12
	v_lshlrev_b32_e32 v14, 2, v14
	v_xor_b32_e32 v12, 32, v2
	s_waitcnt lgkmcnt(0)
	v_add_f64 v[10:11], v[5:6], v[10:11]
	v_and_or_b32 v0, v12, 63, v0
	v_lshlrev_b32_e32 v0, 2, v0
	v_cndmask_b32_e32 v6, v6, v11, vcc
	v_cndmask_b32_e32 v5, v5, v10, vcc
	ds_bpermute_b32 v10, v14, v5
	ds_bpermute_b32 v11, v14, v6
	v_cmp_gt_i32_e32 vcc, s4, v13
	s_waitcnt lgkmcnt(0)
	v_add_f64 v[10:11], v[5:6], v[10:11]
	v_cndmask_b32_e32 v6, v6, v11, vcc
	v_cndmask_b32_e32 v5, v5, v10, vcc
	ds_bpermute_b32 v10, v0, v5
	ds_bpermute_b32 v11, v0, v6
	v_cmp_gt_i32_e32 vcc, s4, v12
	s_waitcnt lgkmcnt(0)
	v_add_f64 v[10:11], v[5:6], v[10:11]
	v_cndmask_b32_e32 v6, v6, v11, vcc
	v_cndmask_b32_e32 v5, v5, v10, vcc
	s_cbranch_execnz .LBB4_8
.LBB4_7:
	v_and_b32_e32 v0, 64, v9
	v_add_u32_e32 v0, 64, v0
	v_xor_b32_e32 v5, 1, v9
	v_cmp_lt_i32_e32 vcc, v5, v0
	v_cndmask_b32_e32 v5, v9, v5, vcc
	v_lshlrev_b32_e32 v6, 2, v5
	ds_bpermute_b32 v5, v6, v3
	ds_bpermute_b32 v6, v6, v4
	s_waitcnt lgkmcnt(0)
	v_add_f64 v[3:4], v[3:4], v[5:6]
	v_xor_b32_e32 v5, 2, v9
	v_cmp_lt_i32_e32 vcc, v5, v0
	v_cndmask_b32_e32 v5, v9, v5, vcc
	v_lshlrev_b32_e32 v6, 2, v5
	ds_bpermute_b32 v5, v6, v3
	ds_bpermute_b32 v6, v6, v4
	s_waitcnt lgkmcnt(0)
	v_add_f64 v[3:4], v[3:4], v[5:6]
	;; [unrolled: 8-line block ×6, first 2 shown]
.LBB4_8:
	s_cmpk_lt_i32 s4, 0x41
	s_cbranch_scc1 .LBB4_16
; %bb.9:
	v_lshrrev_b32_e32 v0, 26, v1
	v_add_u32_e32 v3, v2, v0
	v_and_b32_e32 v0, 0xffffffc0, v3
	v_sub_u32_e32 v0, v2, v0
	v_cmp_eq_u32_e32 vcc, 0, v0
	s_and_saveexec_b64 s[12:13], vcc
; %bb.10:
	v_ashrrev_i32_e32 v3, 6, v3
	v_lshlrev_b32_e32 v3, 3, v3
	ds_write_b64 v3, v[5:6]
; %bb.11:
	s_or_b64 exec, exec, s[12:13]
	v_add_co_u32_e32 v2, vcc, 63, v2
	v_addc_co_u32_e32 v3, vcc, 0, v1, vcc
	s_mov_b64 s[12:13], 0x7f
	v_cmp_gt_u64_e32 vcc, s[12:13], v[2:3]
	s_waitcnt lgkmcnt(0)
	s_barrier
	s_and_saveexec_b64 s[12:13], vcc
	s_cbranch_execz .LBB4_15
; %bb.12:
	v_ashrrev_i32_e32 v1, 31, v0
	v_lshlrev_b64 v[1:2], 6, v[0:1]
	v_cmp_gt_i64_e32 vcc, s[4:5], v[1:2]
	v_mov_b32_e32 v1, s2
	v_mov_b32_e32 v2, s3
	s_and_saveexec_b64 s[4:5], vcc
; %bb.13:
	v_lshlrev_b32_e32 v0, 3, v0
	ds_read_b64 v[1:2], v0
; %bb.14:
	s_or_b64 exec, exec, s[4:5]
	v_and_b32_e32 v0, 64, v9
	v_add_u32_e32 v5, 64, v0
	v_xor_b32_e32 v0, 1, v9
	v_cmp_lt_i32_e32 vcc, v0, v5
	v_cndmask_b32_e32 v0, v9, v0, vcc
	v_lshlrev_b32_e32 v0, 2, v0
	s_waitcnt lgkmcnt(0)
	ds_bpermute_b32 v3, v0, v1
	ds_bpermute_b32 v4, v0, v2
	s_waitcnt lgkmcnt(0)
	v_add_f64 v[0:1], v[1:2], v[3:4]
	v_xor_b32_e32 v2, 2, v9
	v_cmp_lt_i32_e32 vcc, v2, v5
	v_cndmask_b32_e32 v2, v9, v2, vcc
	v_lshlrev_b32_e32 v3, 2, v2
	ds_bpermute_b32 v2, v3, v0
	ds_bpermute_b32 v3, v3, v1
	s_waitcnt lgkmcnt(0)
	v_add_f64 v[0:1], v[0:1], v[2:3]
	v_xor_b32_e32 v2, 4, v9
	v_cmp_lt_i32_e32 vcc, v2, v5
	v_cndmask_b32_e32 v2, v9, v2, vcc
	v_lshlrev_b32_e32 v3, 2, v2
	;; [unrolled: 8-line block ×3, first 2 shown]
	ds_bpermute_b32 v2, v3, v0
	ds_bpermute_b32 v3, v3, v1
	s_waitcnt lgkmcnt(0)
	v_add_f64 v[5:6], v[0:1], v[2:3]
.LBB4_15:
	s_or_b64 exec, exec, s[12:13]
	s_barrier
.LBB4_16:
	v_cmp_neq_f64_e32 vcc, s[2:3], v[5:6]
	v_sub_u32_e32 v0, 0, v8
	v_cmp_eq_u32_e64 s[2:3], v7, v0
	s_and_b64 s[2:3], s[2:3], vcc
	s_and_saveexec_b64 s[4:5], s[2:3]
	s_cbranch_execz .LBB4_19
; %bb.17:
	s_mul_i32 s1, s11, s8
	s_add_i32 s0, s1, s0
	s_mul_i32 s0, s0, s10
	s_add_i32 s0, s0, s6
	s_ashr_i32 s1, s0, 31
	s_lshr_b32 s1, s1, 27
	s_add_i32 s1, s0, s1
	s_and_b32 s1, s1, 0x1fffffe0
	s_sub_i32 s0, s0, s1
	s_lshl_b32 s0, s0, 3
	s_ashr_i32 s1, s0, 31
	s_lshl_b64 s[0:1], s[0:1], 3
	s_add_u32 s0, s18, s0
	s_addc_u32 s1, s19, s1
	v_mov_b32_e32 v8, s1
	v_mov_b32_e32 v7, s0
	flat_load_dwordx2 v[2:3], v[7:8]
	s_mov_b64 s[0:1], 0
.LBB4_18:                               ; =>This Inner Loop Header: Depth=1
	s_waitcnt vmcnt(0) lgkmcnt(0)
	v_add_f64 v[0:1], v[2:3], v[5:6]
	flat_atomic_cmpswap_x2 v[0:1], v[7:8], v[0:3] glc
	s_waitcnt vmcnt(0) lgkmcnt(0)
	v_cmp_eq_u64_e32 vcc, v[0:1], v[2:3]
	v_mov_b32_e32 v3, v1
	s_or_b64 s[0:1], vcc, s[0:1]
	v_mov_b32_e32 v2, v0
	s_andn2_b64 exec, exec, s[0:1]
	s_cbranch_execnz .LBB4_18
.LBB4_19:
	s_endpgm
.LBB4_20:
                                        ; implicit-def: $vgpr5_vgpr6
	s_branch .LBB4_7
	.section	.rodata,"a",@progbits
	.p2align	6, 0x0
	.amdhsa_kernel _ZN4RAJA6policy3hip4impl18forallp_hip_kernelINS1_8hip_execINS_17iteration_mapping11StridedLoopILm0EEENS_3hip11IndexGlobalILNS_9named_dimE0ELi256ELi0EEENS8_40AvoidDeviceMaxThreadOccupancyConcretizerINS8_34FractionOffsetOccupancyConcretizerINS_8FractionImLm1ELm1EEELln1EEEEELb1EEENS_9Iterators16numeric_iteratorIllPlEEZN8rajaperf5basic8TRAP_INT17runHipVariantRAJAILm256ENSN_13gpu_algorithm19block_atomic_helperENSN_11gpu_mapping40global_loop_occupancy_grid_stride_helperEEEvNSN_9VariantIDEEUllE_lNS_4expt15ForallParamPackIJEEES7_SB_TnNSt9enable_ifIXaaaasr3std10is_base_ofINS5_15StridedLoopBaseET4_EE5valuesr3std10is_base_ofINS5_15UnsizedLoopBaseES12_EE5valuegtsrT5_10block_sizeLi0EEmE4typeELm256EEEvT1_T0_T2_T3_
		.amdhsa_group_segment_fixed_size 128
		.amdhsa_private_segment_fixed_size 0
		.amdhsa_kernarg_size 360
		.amdhsa_user_sgpr_count 6
		.amdhsa_user_sgpr_private_segment_buffer 1
		.amdhsa_user_sgpr_dispatch_ptr 0
		.amdhsa_user_sgpr_queue_ptr 0
		.amdhsa_user_sgpr_kernarg_segment_ptr 1
		.amdhsa_user_sgpr_dispatch_id 0
		.amdhsa_user_sgpr_flat_scratch_init 0
		.amdhsa_user_sgpr_private_segment_size 0
		.amdhsa_uses_dynamic_stack 0
		.amdhsa_system_sgpr_private_segment_wavefront_offset 0
		.amdhsa_system_sgpr_workgroup_id_x 1
		.amdhsa_system_sgpr_workgroup_id_y 1
		.amdhsa_system_sgpr_workgroup_id_z 1
		.amdhsa_system_sgpr_workgroup_info 0
		.amdhsa_system_vgpr_workitem_id 2
		.amdhsa_next_free_vgpr 26
		.amdhsa_next_free_sgpr 32
		.amdhsa_reserve_vcc 1
		.amdhsa_reserve_flat_scratch 0
		.amdhsa_float_round_mode_32 0
		.amdhsa_float_round_mode_16_64 0
		.amdhsa_float_denorm_mode_32 3
		.amdhsa_float_denorm_mode_16_64 3
		.amdhsa_dx10_clamp 1
		.amdhsa_ieee_mode 1
		.amdhsa_fp16_overflow 0
		.amdhsa_exception_fp_ieee_invalid_op 0
		.amdhsa_exception_fp_denorm_src 0
		.amdhsa_exception_fp_ieee_div_zero 0
		.amdhsa_exception_fp_ieee_overflow 0
		.amdhsa_exception_fp_ieee_underflow 0
		.amdhsa_exception_fp_ieee_inexact 0
		.amdhsa_exception_int_div_zero 0
	.end_amdhsa_kernel
	.section	.text._ZN4RAJA6policy3hip4impl18forallp_hip_kernelINS1_8hip_execINS_17iteration_mapping11StridedLoopILm0EEENS_3hip11IndexGlobalILNS_9named_dimE0ELi256ELi0EEENS8_40AvoidDeviceMaxThreadOccupancyConcretizerINS8_34FractionOffsetOccupancyConcretizerINS_8FractionImLm1ELm1EEELln1EEEEELb1EEENS_9Iterators16numeric_iteratorIllPlEEZN8rajaperf5basic8TRAP_INT17runHipVariantRAJAILm256ENSN_13gpu_algorithm19block_atomic_helperENSN_11gpu_mapping40global_loop_occupancy_grid_stride_helperEEEvNSN_9VariantIDEEUllE_lNS_4expt15ForallParamPackIJEEES7_SB_TnNSt9enable_ifIXaaaasr3std10is_base_ofINS5_15StridedLoopBaseET4_EE5valuesr3std10is_base_ofINS5_15UnsizedLoopBaseES12_EE5valuegtsrT5_10block_sizeLi0EEmE4typeELm256EEEvT1_T0_T2_T3_,"axG",@progbits,_ZN4RAJA6policy3hip4impl18forallp_hip_kernelINS1_8hip_execINS_17iteration_mapping11StridedLoopILm0EEENS_3hip11IndexGlobalILNS_9named_dimE0ELi256ELi0EEENS8_40AvoidDeviceMaxThreadOccupancyConcretizerINS8_34FractionOffsetOccupancyConcretizerINS_8FractionImLm1ELm1EEELln1EEEEELb1EEENS_9Iterators16numeric_iteratorIllPlEEZN8rajaperf5basic8TRAP_INT17runHipVariantRAJAILm256ENSN_13gpu_algorithm19block_atomic_helperENSN_11gpu_mapping40global_loop_occupancy_grid_stride_helperEEEvNSN_9VariantIDEEUllE_lNS_4expt15ForallParamPackIJEEES7_SB_TnNSt9enable_ifIXaaaasr3std10is_base_ofINS5_15StridedLoopBaseET4_EE5valuesr3std10is_base_ofINS5_15UnsizedLoopBaseES12_EE5valuegtsrT5_10block_sizeLi0EEmE4typeELm256EEEvT1_T0_T2_T3_,comdat
.Lfunc_end4:
	.size	_ZN4RAJA6policy3hip4impl18forallp_hip_kernelINS1_8hip_execINS_17iteration_mapping11StridedLoopILm0EEENS_3hip11IndexGlobalILNS_9named_dimE0ELi256ELi0EEENS8_40AvoidDeviceMaxThreadOccupancyConcretizerINS8_34FractionOffsetOccupancyConcretizerINS_8FractionImLm1ELm1EEELln1EEEEELb1EEENS_9Iterators16numeric_iteratorIllPlEEZN8rajaperf5basic8TRAP_INT17runHipVariantRAJAILm256ENSN_13gpu_algorithm19block_atomic_helperENSN_11gpu_mapping40global_loop_occupancy_grid_stride_helperEEEvNSN_9VariantIDEEUllE_lNS_4expt15ForallParamPackIJEEES7_SB_TnNSt9enable_ifIXaaaasr3std10is_base_ofINS5_15StridedLoopBaseET4_EE5valuesr3std10is_base_ofINS5_15UnsizedLoopBaseES12_EE5valuegtsrT5_10block_sizeLi0EEmE4typeELm256EEEvT1_T0_T2_T3_, .Lfunc_end4-_ZN4RAJA6policy3hip4impl18forallp_hip_kernelINS1_8hip_execINS_17iteration_mapping11StridedLoopILm0EEENS_3hip11IndexGlobalILNS_9named_dimE0ELi256ELi0EEENS8_40AvoidDeviceMaxThreadOccupancyConcretizerINS8_34FractionOffsetOccupancyConcretizerINS_8FractionImLm1ELm1EEELln1EEEEELb1EEENS_9Iterators16numeric_iteratorIllPlEEZN8rajaperf5basic8TRAP_INT17runHipVariantRAJAILm256ENSN_13gpu_algorithm19block_atomic_helperENSN_11gpu_mapping40global_loop_occupancy_grid_stride_helperEEEvNSN_9VariantIDEEUllE_lNS_4expt15ForallParamPackIJEEES7_SB_TnNSt9enable_ifIXaaaasr3std10is_base_ofINS5_15StridedLoopBaseET4_EE5valuesr3std10is_base_ofINS5_15UnsizedLoopBaseES12_EE5valuegtsrT5_10block_sizeLi0EEmE4typeELm256EEEvT1_T0_T2_T3_
                                        ; -- End function
	.set _ZN4RAJA6policy3hip4impl18forallp_hip_kernelINS1_8hip_execINS_17iteration_mapping11StridedLoopILm0EEENS_3hip11IndexGlobalILNS_9named_dimE0ELi256ELi0EEENS8_40AvoidDeviceMaxThreadOccupancyConcretizerINS8_34FractionOffsetOccupancyConcretizerINS_8FractionImLm1ELm1EEELln1EEEEELb1EEENS_9Iterators16numeric_iteratorIllPlEEZN8rajaperf5basic8TRAP_INT17runHipVariantRAJAILm256ENSN_13gpu_algorithm19block_atomic_helperENSN_11gpu_mapping40global_loop_occupancy_grid_stride_helperEEEvNSN_9VariantIDEEUllE_lNS_4expt15ForallParamPackIJEEES7_SB_TnNSt9enable_ifIXaaaasr3std10is_base_ofINS5_15StridedLoopBaseET4_EE5valuesr3std10is_base_ofINS5_15UnsizedLoopBaseES12_EE5valuegtsrT5_10block_sizeLi0EEmE4typeELm256EEEvT1_T0_T2_T3_.num_vgpr, 26
	.set _ZN4RAJA6policy3hip4impl18forallp_hip_kernelINS1_8hip_execINS_17iteration_mapping11StridedLoopILm0EEENS_3hip11IndexGlobalILNS_9named_dimE0ELi256ELi0EEENS8_40AvoidDeviceMaxThreadOccupancyConcretizerINS8_34FractionOffsetOccupancyConcretizerINS_8FractionImLm1ELm1EEELln1EEEEELb1EEENS_9Iterators16numeric_iteratorIllPlEEZN8rajaperf5basic8TRAP_INT17runHipVariantRAJAILm256ENSN_13gpu_algorithm19block_atomic_helperENSN_11gpu_mapping40global_loop_occupancy_grid_stride_helperEEEvNSN_9VariantIDEEUllE_lNS_4expt15ForallParamPackIJEEES7_SB_TnNSt9enable_ifIXaaaasr3std10is_base_ofINS5_15StridedLoopBaseET4_EE5valuesr3std10is_base_ofINS5_15UnsizedLoopBaseES12_EE5valuegtsrT5_10block_sizeLi0EEmE4typeELm256EEEvT1_T0_T2_T3_.num_agpr, 0
	.set _ZN4RAJA6policy3hip4impl18forallp_hip_kernelINS1_8hip_execINS_17iteration_mapping11StridedLoopILm0EEENS_3hip11IndexGlobalILNS_9named_dimE0ELi256ELi0EEENS8_40AvoidDeviceMaxThreadOccupancyConcretizerINS8_34FractionOffsetOccupancyConcretizerINS_8FractionImLm1ELm1EEELln1EEEEELb1EEENS_9Iterators16numeric_iteratorIllPlEEZN8rajaperf5basic8TRAP_INT17runHipVariantRAJAILm256ENSN_13gpu_algorithm19block_atomic_helperENSN_11gpu_mapping40global_loop_occupancy_grid_stride_helperEEEvNSN_9VariantIDEEUllE_lNS_4expt15ForallParamPackIJEEES7_SB_TnNSt9enable_ifIXaaaasr3std10is_base_ofINS5_15StridedLoopBaseET4_EE5valuesr3std10is_base_ofINS5_15UnsizedLoopBaseES12_EE5valuegtsrT5_10block_sizeLi0EEmE4typeELm256EEEvT1_T0_T2_T3_.numbered_sgpr, 32
	.set _ZN4RAJA6policy3hip4impl18forallp_hip_kernelINS1_8hip_execINS_17iteration_mapping11StridedLoopILm0EEENS_3hip11IndexGlobalILNS_9named_dimE0ELi256ELi0EEENS8_40AvoidDeviceMaxThreadOccupancyConcretizerINS8_34FractionOffsetOccupancyConcretizerINS_8FractionImLm1ELm1EEELln1EEEEELb1EEENS_9Iterators16numeric_iteratorIllPlEEZN8rajaperf5basic8TRAP_INT17runHipVariantRAJAILm256ENSN_13gpu_algorithm19block_atomic_helperENSN_11gpu_mapping40global_loop_occupancy_grid_stride_helperEEEvNSN_9VariantIDEEUllE_lNS_4expt15ForallParamPackIJEEES7_SB_TnNSt9enable_ifIXaaaasr3std10is_base_ofINS5_15StridedLoopBaseET4_EE5valuesr3std10is_base_ofINS5_15UnsizedLoopBaseES12_EE5valuegtsrT5_10block_sizeLi0EEmE4typeELm256EEEvT1_T0_T2_T3_.num_named_barrier, 0
	.set _ZN4RAJA6policy3hip4impl18forallp_hip_kernelINS1_8hip_execINS_17iteration_mapping11StridedLoopILm0EEENS_3hip11IndexGlobalILNS_9named_dimE0ELi256ELi0EEENS8_40AvoidDeviceMaxThreadOccupancyConcretizerINS8_34FractionOffsetOccupancyConcretizerINS_8FractionImLm1ELm1EEELln1EEEEELb1EEENS_9Iterators16numeric_iteratorIllPlEEZN8rajaperf5basic8TRAP_INT17runHipVariantRAJAILm256ENSN_13gpu_algorithm19block_atomic_helperENSN_11gpu_mapping40global_loop_occupancy_grid_stride_helperEEEvNSN_9VariantIDEEUllE_lNS_4expt15ForallParamPackIJEEES7_SB_TnNSt9enable_ifIXaaaasr3std10is_base_ofINS5_15StridedLoopBaseET4_EE5valuesr3std10is_base_ofINS5_15UnsizedLoopBaseES12_EE5valuegtsrT5_10block_sizeLi0EEmE4typeELm256EEEvT1_T0_T2_T3_.private_seg_size, 0
	.set _ZN4RAJA6policy3hip4impl18forallp_hip_kernelINS1_8hip_execINS_17iteration_mapping11StridedLoopILm0EEENS_3hip11IndexGlobalILNS_9named_dimE0ELi256ELi0EEENS8_40AvoidDeviceMaxThreadOccupancyConcretizerINS8_34FractionOffsetOccupancyConcretizerINS_8FractionImLm1ELm1EEELln1EEEEELb1EEENS_9Iterators16numeric_iteratorIllPlEEZN8rajaperf5basic8TRAP_INT17runHipVariantRAJAILm256ENSN_13gpu_algorithm19block_atomic_helperENSN_11gpu_mapping40global_loop_occupancy_grid_stride_helperEEEvNSN_9VariantIDEEUllE_lNS_4expt15ForallParamPackIJEEES7_SB_TnNSt9enable_ifIXaaaasr3std10is_base_ofINS5_15StridedLoopBaseET4_EE5valuesr3std10is_base_ofINS5_15UnsizedLoopBaseES12_EE5valuegtsrT5_10block_sizeLi0EEmE4typeELm256EEEvT1_T0_T2_T3_.uses_vcc, 1
	.set _ZN4RAJA6policy3hip4impl18forallp_hip_kernelINS1_8hip_execINS_17iteration_mapping11StridedLoopILm0EEENS_3hip11IndexGlobalILNS_9named_dimE0ELi256ELi0EEENS8_40AvoidDeviceMaxThreadOccupancyConcretizerINS8_34FractionOffsetOccupancyConcretizerINS_8FractionImLm1ELm1EEELln1EEEEELb1EEENS_9Iterators16numeric_iteratorIllPlEEZN8rajaperf5basic8TRAP_INT17runHipVariantRAJAILm256ENSN_13gpu_algorithm19block_atomic_helperENSN_11gpu_mapping40global_loop_occupancy_grid_stride_helperEEEvNSN_9VariantIDEEUllE_lNS_4expt15ForallParamPackIJEEES7_SB_TnNSt9enable_ifIXaaaasr3std10is_base_ofINS5_15StridedLoopBaseET4_EE5valuesr3std10is_base_ofINS5_15UnsizedLoopBaseES12_EE5valuegtsrT5_10block_sizeLi0EEmE4typeELm256EEEvT1_T0_T2_T3_.uses_flat_scratch, 0
	.set _ZN4RAJA6policy3hip4impl18forallp_hip_kernelINS1_8hip_execINS_17iteration_mapping11StridedLoopILm0EEENS_3hip11IndexGlobalILNS_9named_dimE0ELi256ELi0EEENS8_40AvoidDeviceMaxThreadOccupancyConcretizerINS8_34FractionOffsetOccupancyConcretizerINS_8FractionImLm1ELm1EEELln1EEEEELb1EEENS_9Iterators16numeric_iteratorIllPlEEZN8rajaperf5basic8TRAP_INT17runHipVariantRAJAILm256ENSN_13gpu_algorithm19block_atomic_helperENSN_11gpu_mapping40global_loop_occupancy_grid_stride_helperEEEvNSN_9VariantIDEEUllE_lNS_4expt15ForallParamPackIJEEES7_SB_TnNSt9enable_ifIXaaaasr3std10is_base_ofINS5_15StridedLoopBaseET4_EE5valuesr3std10is_base_ofINS5_15UnsizedLoopBaseES12_EE5valuegtsrT5_10block_sizeLi0EEmE4typeELm256EEEvT1_T0_T2_T3_.has_dyn_sized_stack, 0
	.set _ZN4RAJA6policy3hip4impl18forallp_hip_kernelINS1_8hip_execINS_17iteration_mapping11StridedLoopILm0EEENS_3hip11IndexGlobalILNS_9named_dimE0ELi256ELi0EEENS8_40AvoidDeviceMaxThreadOccupancyConcretizerINS8_34FractionOffsetOccupancyConcretizerINS_8FractionImLm1ELm1EEELln1EEEEELb1EEENS_9Iterators16numeric_iteratorIllPlEEZN8rajaperf5basic8TRAP_INT17runHipVariantRAJAILm256ENSN_13gpu_algorithm19block_atomic_helperENSN_11gpu_mapping40global_loop_occupancy_grid_stride_helperEEEvNSN_9VariantIDEEUllE_lNS_4expt15ForallParamPackIJEEES7_SB_TnNSt9enable_ifIXaaaasr3std10is_base_ofINS5_15StridedLoopBaseET4_EE5valuesr3std10is_base_ofINS5_15UnsizedLoopBaseES12_EE5valuegtsrT5_10block_sizeLi0EEmE4typeELm256EEEvT1_T0_T2_T3_.has_recursion, 0
	.set _ZN4RAJA6policy3hip4impl18forallp_hip_kernelINS1_8hip_execINS_17iteration_mapping11StridedLoopILm0EEENS_3hip11IndexGlobalILNS_9named_dimE0ELi256ELi0EEENS8_40AvoidDeviceMaxThreadOccupancyConcretizerINS8_34FractionOffsetOccupancyConcretizerINS_8FractionImLm1ELm1EEELln1EEEEELb1EEENS_9Iterators16numeric_iteratorIllPlEEZN8rajaperf5basic8TRAP_INT17runHipVariantRAJAILm256ENSN_13gpu_algorithm19block_atomic_helperENSN_11gpu_mapping40global_loop_occupancy_grid_stride_helperEEEvNSN_9VariantIDEEUllE_lNS_4expt15ForallParamPackIJEEES7_SB_TnNSt9enable_ifIXaaaasr3std10is_base_ofINS5_15StridedLoopBaseET4_EE5valuesr3std10is_base_ofINS5_15UnsizedLoopBaseES12_EE5valuegtsrT5_10block_sizeLi0EEmE4typeELm256EEEvT1_T0_T2_T3_.has_indirect_call, 0
	.section	.AMDGPU.csdata,"",@progbits
; Kernel info:
; codeLenInByte = 1760
; TotalNumSgprs: 36
; NumVgprs: 26
; ScratchSize: 0
; MemoryBound: 0
; FloatMode: 240
; IeeeMode: 1
; LDSByteSize: 128 bytes/workgroup (compile time only)
; SGPRBlocks: 4
; VGPRBlocks: 6
; NumSGPRsForWavesPerEU: 36
; NumVGPRsForWavesPerEU: 26
; Occupancy: 9
; WaveLimiterHint : 1
; COMPUTE_PGM_RSRC2:SCRATCH_EN: 0
; COMPUTE_PGM_RSRC2:USER_SGPR: 6
; COMPUTE_PGM_RSRC2:TRAP_HANDLER: 0
; COMPUTE_PGM_RSRC2:TGID_X_EN: 1
; COMPUTE_PGM_RSRC2:TGID_Y_EN: 1
; COMPUTE_PGM_RSRC2:TGID_Z_EN: 1
; COMPUTE_PGM_RSRC2:TIDIG_COMP_CNT: 2
	.section	.text._ZN4RAJA6policy3hip4impl18forallp_hip_kernelINS1_8hip_execINS_17iteration_mapping11StridedLoopILm0EEENS_3hip11IndexGlobalILNS_9named_dimE0ELi256ELi0EEENS8_40AvoidDeviceMaxThreadOccupancyConcretizerINS8_34FractionOffsetOccupancyConcretizerINS_8FractionImLm1ELm1EEELln1EEEEELb1EEENS_9Iterators16numeric_iteratorIllPlEEZN8rajaperf5basic8TRAP_INT17runHipVariantRAJAILm256ENSN_13gpu_algorithm19block_device_helperENSN_11gpu_mapping40global_loop_occupancy_grid_stride_helperEEEvNSN_9VariantIDEEUllE_lNS_4expt15ForallParamPackIJEEES7_SB_TnNSt9enable_ifIXaaaasr3std10is_base_ofINS5_15StridedLoopBaseET4_EE5valuesr3std10is_base_ofINS5_15UnsizedLoopBaseES12_EE5valuegtsrT5_10block_sizeLi0EEmE4typeELm256EEEvT1_T0_T2_T3_,"axG",@progbits,_ZN4RAJA6policy3hip4impl18forallp_hip_kernelINS1_8hip_execINS_17iteration_mapping11StridedLoopILm0EEENS_3hip11IndexGlobalILNS_9named_dimE0ELi256ELi0EEENS8_40AvoidDeviceMaxThreadOccupancyConcretizerINS8_34FractionOffsetOccupancyConcretizerINS_8FractionImLm1ELm1EEELln1EEEEELb1EEENS_9Iterators16numeric_iteratorIllPlEEZN8rajaperf5basic8TRAP_INT17runHipVariantRAJAILm256ENSN_13gpu_algorithm19block_device_helperENSN_11gpu_mapping40global_loop_occupancy_grid_stride_helperEEEvNSN_9VariantIDEEUllE_lNS_4expt15ForallParamPackIJEEES7_SB_TnNSt9enable_ifIXaaaasr3std10is_base_ofINS5_15StridedLoopBaseET4_EE5valuesr3std10is_base_ofINS5_15UnsizedLoopBaseES12_EE5valuegtsrT5_10block_sizeLi0EEmE4typeELm256EEEvT1_T0_T2_T3_,comdat
	.protected	_ZN4RAJA6policy3hip4impl18forallp_hip_kernelINS1_8hip_execINS_17iteration_mapping11StridedLoopILm0EEENS_3hip11IndexGlobalILNS_9named_dimE0ELi256ELi0EEENS8_40AvoidDeviceMaxThreadOccupancyConcretizerINS8_34FractionOffsetOccupancyConcretizerINS_8FractionImLm1ELm1EEELln1EEEEELb1EEENS_9Iterators16numeric_iteratorIllPlEEZN8rajaperf5basic8TRAP_INT17runHipVariantRAJAILm256ENSN_13gpu_algorithm19block_device_helperENSN_11gpu_mapping40global_loop_occupancy_grid_stride_helperEEEvNSN_9VariantIDEEUllE_lNS_4expt15ForallParamPackIJEEES7_SB_TnNSt9enable_ifIXaaaasr3std10is_base_ofINS5_15StridedLoopBaseET4_EE5valuesr3std10is_base_ofINS5_15UnsizedLoopBaseES12_EE5valuegtsrT5_10block_sizeLi0EEmE4typeELm256EEEvT1_T0_T2_T3_ ; -- Begin function _ZN4RAJA6policy3hip4impl18forallp_hip_kernelINS1_8hip_execINS_17iteration_mapping11StridedLoopILm0EEENS_3hip11IndexGlobalILNS_9named_dimE0ELi256ELi0EEENS8_40AvoidDeviceMaxThreadOccupancyConcretizerINS8_34FractionOffsetOccupancyConcretizerINS_8FractionImLm1ELm1EEELln1EEEEELb1EEENS_9Iterators16numeric_iteratorIllPlEEZN8rajaperf5basic8TRAP_INT17runHipVariantRAJAILm256ENSN_13gpu_algorithm19block_device_helperENSN_11gpu_mapping40global_loop_occupancy_grid_stride_helperEEEvNSN_9VariantIDEEUllE_lNS_4expt15ForallParamPackIJEEES7_SB_TnNSt9enable_ifIXaaaasr3std10is_base_ofINS5_15StridedLoopBaseET4_EE5valuesr3std10is_base_ofINS5_15UnsizedLoopBaseES12_EE5valuegtsrT5_10block_sizeLi0EEmE4typeELm256EEEvT1_T0_T2_T3_
	.globl	_ZN4RAJA6policy3hip4impl18forallp_hip_kernelINS1_8hip_execINS_17iteration_mapping11StridedLoopILm0EEENS_3hip11IndexGlobalILNS_9named_dimE0ELi256ELi0EEENS8_40AvoidDeviceMaxThreadOccupancyConcretizerINS8_34FractionOffsetOccupancyConcretizerINS_8FractionImLm1ELm1EEELln1EEEEELb1EEENS_9Iterators16numeric_iteratorIllPlEEZN8rajaperf5basic8TRAP_INT17runHipVariantRAJAILm256ENSN_13gpu_algorithm19block_device_helperENSN_11gpu_mapping40global_loop_occupancy_grid_stride_helperEEEvNSN_9VariantIDEEUllE_lNS_4expt15ForallParamPackIJEEES7_SB_TnNSt9enable_ifIXaaaasr3std10is_base_ofINS5_15StridedLoopBaseET4_EE5valuesr3std10is_base_ofINS5_15UnsizedLoopBaseES12_EE5valuegtsrT5_10block_sizeLi0EEmE4typeELm256EEEvT1_T0_T2_T3_
	.p2align	8
	.type	_ZN4RAJA6policy3hip4impl18forallp_hip_kernelINS1_8hip_execINS_17iteration_mapping11StridedLoopILm0EEENS_3hip11IndexGlobalILNS_9named_dimE0ELi256ELi0EEENS8_40AvoidDeviceMaxThreadOccupancyConcretizerINS8_34FractionOffsetOccupancyConcretizerINS_8FractionImLm1ELm1EEELln1EEEEELb1EEENS_9Iterators16numeric_iteratorIllPlEEZN8rajaperf5basic8TRAP_INT17runHipVariantRAJAILm256ENSN_13gpu_algorithm19block_device_helperENSN_11gpu_mapping40global_loop_occupancy_grid_stride_helperEEEvNSN_9VariantIDEEUllE_lNS_4expt15ForallParamPackIJEEES7_SB_TnNSt9enable_ifIXaaaasr3std10is_base_ofINS5_15StridedLoopBaseET4_EE5valuesr3std10is_base_ofINS5_15UnsizedLoopBaseES12_EE5valuegtsrT5_10block_sizeLi0EEmE4typeELm256EEEvT1_T0_T2_T3_,@function
_ZN4RAJA6policy3hip4impl18forallp_hip_kernelINS1_8hip_execINS_17iteration_mapping11StridedLoopILm0EEENS_3hip11IndexGlobalILNS_9named_dimE0ELi256ELi0EEENS8_40AvoidDeviceMaxThreadOccupancyConcretizerINS8_34FractionOffsetOccupancyConcretizerINS_8FractionImLm1ELm1EEELln1EEEEELb1EEENS_9Iterators16numeric_iteratorIllPlEEZN8rajaperf5basic8TRAP_INT17runHipVariantRAJAILm256ENSN_13gpu_algorithm19block_device_helperENSN_11gpu_mapping40global_loop_occupancy_grid_stride_helperEEEvNSN_9VariantIDEEUllE_lNS_4expt15ForallParamPackIJEEES7_SB_TnNSt9enable_ifIXaaaasr3std10is_base_ofINS5_15StridedLoopBaseET4_EE5valuesr3std10is_base_ofINS5_15UnsizedLoopBaseES12_EE5valuegtsrT5_10block_sizeLi0EEmE4typeELm256EEEvT1_T0_T2_T3_: ; @_ZN4RAJA6policy3hip4impl18forallp_hip_kernelINS1_8hip_execINS_17iteration_mapping11StridedLoopILm0EEENS_3hip11IndexGlobalILNS_9named_dimE0ELi256ELi0EEENS8_40AvoidDeviceMaxThreadOccupancyConcretizerINS8_34FractionOffsetOccupancyConcretizerINS_8FractionImLm1ELm1EEELln1EEEEELb1EEENS_9Iterators16numeric_iteratorIllPlEEZN8rajaperf5basic8TRAP_INT17runHipVariantRAJAILm256ENSN_13gpu_algorithm19block_device_helperENSN_11gpu_mapping40global_loop_occupancy_grid_stride_helperEEEvNSN_9VariantIDEEUllE_lNS_4expt15ForallParamPackIJEEES7_SB_TnNSt9enable_ifIXaaaasr3std10is_base_ofINS5_15StridedLoopBaseET4_EE5valuesr3std10is_base_ofINS5_15UnsizedLoopBaseES12_EE5valuegtsrT5_10block_sizeLi0EEmE4typeELm256EEEvT1_T0_T2_T3_
; %bb.0:
	s_load_dwordx4 s[24:27], s[4:5], 0x60
	s_load_dwordx8 s[12:19], s[4:5], 0x0
	s_load_dwordx4 s[20:23], s[4:5], 0x28
	s_load_dwordx2 s[10:11], s[4:5], 0x38
	s_mov_b32 s0, s7
	s_mov_b32 s7, 0
	s_lshl_b64 s[2:3], s[6:7], 8
	v_or_b32_e32 v5, s2, v0
	v_mov_b32_e32 v6, s3
	s_waitcnt lgkmcnt(0)
	v_cmp_gt_i64_e32 vcc, s[26:27], v[5:6]
	v_mov_b32_e32 v3, s20
	v_mov_b32_e32 v4, s21
	s_and_saveexec_b64 s[2:3], vcc
	s_cbranch_execz .LBB5_4
; %bb.1:
	s_load_dwordx2 s[34:35], s[4:5], 0x58
	s_load_dwordx4 s[28:31], s[4:5], 0x48
	v_mov_b32_e32 v9, s12
	v_mov_b32_e32 v10, s13
	s_mov_b32 s12, 0
	s_waitcnt lgkmcnt(0)
	v_mov_b32_e32 v3, s34
	v_mov_b32_e32 v4, s35
	v_add_f64 v[7:8], s[28:29], -v[3:4]
	s_load_dword s34, s[4:5], 0x78
	s_mov_b32 s35, s7
	v_mov_b32_e32 v3, s20
	s_mov_b64 s[28:29], 0
	v_mov_b32_e32 v4, s21
	s_waitcnt lgkmcnt(0)
	s_lshl_b64 s[34:35], s[34:35], 8
	v_mov_b32_e32 v11, s25
	v_mul_f64 v[7:8], v[7:8], v[7:8]
	s_brev_b32 s13, 8
	v_mov_b32_e32 v12, 0x100
	v_mov_b32_e32 v13, 0xffffff80
	v_mov_b32_e32 v14, 0x260
	v_mov_b32_e32 v15, s35
.LBB5_2:                                ; =>This Inner Loop Header: Depth=1
	v_add_co_u32_e32 v18, vcc, s24, v5
	v_addc_co_u32_e32 v16, vcc, v11, v6, vcc
	v_cvt_f64_i32_e32 v[16:17], v16
	v_cvt_f64_u32_e32 v[18:19], v18
	v_ldexp_f64 v[16:17], v[16:17], 32
	v_add_f64 v[16:17], v[16:17], v[18:19]
	v_fma_f64 v[16:17], s[14:15], v[16:17], v[9:10]
	v_add_f64 v[16:17], v[16:17], -s[30:31]
	v_fma_f64 v[16:17], v[16:17], v[16:17], v[7:8]
	v_cmp_gt_f64_e32 vcc, s[12:13], v[16:17]
	v_cndmask_b32_e32 v18, 0, v12, vcc
	v_ldexp_f64 v[16:17], v[16:17], v18
	v_rsq_f64_e32 v[18:19], v[16:17]
	v_mul_f64 v[20:21], v[16:17], v[18:19]
	v_mul_f64 v[18:19], v[18:19], 0.5
	v_fma_f64 v[22:23], -v[18:19], v[20:21], 0.5
	v_fma_f64 v[20:21], v[20:21], v[22:23], v[20:21]
	v_fma_f64 v[18:19], v[18:19], v[22:23], v[18:19]
	v_fma_f64 v[22:23], -v[20:21], v[20:21], v[16:17]
	v_fma_f64 v[20:21], v[22:23], v[18:19], v[20:21]
	v_fma_f64 v[22:23], -v[20:21], v[20:21], v[16:17]
	v_fma_f64 v[18:19], v[22:23], v[18:19], v[20:21]
	v_cndmask_b32_e32 v20, 0, v13, vcc
	v_cmp_class_f64_e32 vcc, v[16:17], v14
	v_ldexp_f64 v[18:19], v[18:19], v20
	v_cndmask_b32_e32 v17, v19, v17, vcc
	v_cndmask_b32_e32 v16, v18, v16, vcc
	v_div_scale_f64 v[18:19], s[36:37], v[16:17], v[16:17], 1.0
	v_rcp_f64_e32 v[20:21], v[18:19]
	v_fma_f64 v[22:23], -v[18:19], v[20:21], 1.0
	v_fma_f64 v[20:21], v[20:21], v[22:23], v[20:21]
	v_div_scale_f64 v[22:23], vcc, 1.0, v[16:17], 1.0
	v_fma_f64 v[24:25], -v[18:19], v[20:21], 1.0
	v_fma_f64 v[20:21], v[20:21], v[24:25], v[20:21]
	v_mul_f64 v[24:25], v[22:23], v[20:21]
	v_fma_f64 v[18:19], -v[18:19], v[24:25], v[22:23]
	v_div_fmas_f64 v[18:19], v[18:19], v[20:21], v[24:25]
	v_add_co_u32_e32 v5, vcc, s34, v5
	v_addc_co_u32_e32 v6, vcc, v6, v15, vcc
	v_cmp_le_i64_e32 vcc, s[26:27], v[5:6]
	s_or_b64 s[28:29], vcc, s[28:29]
	v_div_fixup_f64 v[16:17], v[18:19], v[16:17], 1.0
	v_add_f64 v[3:4], v[3:4], v[16:17]
	s_andn2_b64 exec, exec, s[28:29]
	s_cbranch_execnz .LBB5_2
; %bb.3:
	s_or_b64 exec, exec, s[28:29]
.LBB5_4:
	s_or_b64 exec, exec, s[2:3]
	s_cmp_lg_u64 s[16:17], 0
	s_cbranch_scc0 .LBB5_6
.LBB5_5:
	s_endpgm
.LBB5_6:
	s_load_dwordx2 s[16:17], s[4:5], 0x78
	s_add_u32 s1, s4, 0x78
	v_mov_b32_e32 v5, 0
	s_addc_u32 s3, s5, 0
	global_load_dword v6, v5, s[4:5] offset:134
	s_waitcnt lgkmcnt(0)
	s_cmp_lt_u32 s6, s16
	s_cselect_b32 s2, 12, 18
	s_add_u32 s2, s1, s2
	s_addc_u32 s3, s3, 0
	global_load_ushort v5, v5, s[2:3]
	v_mbcnt_lo_u32_b32 v7, -1, 0
	s_waitcnt vmcnt(1)
	v_readfirstlane_b32 s1, v6
	s_lshr_b32 s2, s1, 16
	s_and_b32 s1, s1, 0xffff
	s_waitcnt vmcnt(0)
	v_readfirstlane_b32 s3, v5
	s_mul_i32 s1, s1, s3
	v_mul_lo_u32 v2, s1, v2
	s_mul_i32 s2, s1, s2
	s_ashr_i32 s3, s2, 31
	s_and_b32 s1, s2, 63
	v_mul_u32_u24_e32 v1, v1, v5
	s_cmp_lg_u32 s1, 0
	s_cselect_b64 s[12:13], -1, 0
	s_cmp_eq_u32 s1, 0
	v_add3_u32 v11, v1, v0, v2
	v_mbcnt_hi_u32_b32 v2, -1, v7
	s_cbranch_scc1 .LBB5_42
; %bb.7:
	v_and_b32_e32 v7, 64, v2
	v_xor_b32_e32 v5, 1, v11
	v_and_or_b32 v0, v5, 63, v7
	v_lshlrev_b32_e32 v1, 2, v0
	ds_bpermute_b32 v0, v1, v3
	ds_bpermute_b32 v1, v1, v4
	v_xor_b32_e32 v8, 2, v11
	v_and_or_b32 v6, v8, 63, v7
	v_cmp_gt_i32_e32 vcc, s2, v5
	v_lshlrev_b32_e32 v6, 2, v6
	s_waitcnt lgkmcnt(0)
	v_add_f64 v[0:1], v[3:4], v[0:1]
	v_xor_b32_e32 v9, 4, v11
	v_and_or_b32 v10, v9, 63, v7
	v_lshlrev_b32_e32 v10, 2, v10
	v_cndmask_b32_e32 v1, v4, v1, vcc
	v_cndmask_b32_e32 v0, v3, v0, vcc
	ds_bpermute_b32 v5, v6, v0
	ds_bpermute_b32 v6, v6, v1
	v_cmp_gt_i32_e32 vcc, s2, v8
	v_xor_b32_e32 v8, 8, v11
	s_waitcnt lgkmcnt(0)
	v_add_f64 v[5:6], v[0:1], v[5:6]
	v_cndmask_b32_e32 v1, v1, v6, vcc
	v_cndmask_b32_e32 v0, v0, v5, vcc
	ds_bpermute_b32 v5, v10, v0
	ds_bpermute_b32 v6, v10, v1
	v_and_or_b32 v10, v8, 63, v7
	v_cmp_gt_i32_e32 vcc, s2, v9
	v_lshlrev_b32_e32 v10, 2, v10
	v_xor_b32_e32 v9, 16, v11
	s_waitcnt lgkmcnt(0)
	v_add_f64 v[5:6], v[0:1], v[5:6]
	v_cndmask_b32_e32 v1, v1, v6, vcc
	v_cndmask_b32_e32 v0, v0, v5, vcc
	ds_bpermute_b32 v5, v10, v0
	ds_bpermute_b32 v6, v10, v1
	v_and_or_b32 v10, v9, 63, v7
	v_cmp_gt_i32_e32 vcc, s2, v8
	v_lshlrev_b32_e32 v10, 2, v10
	v_xor_b32_e32 v8, 32, v11
	s_waitcnt lgkmcnt(0)
	v_add_f64 v[5:6], v[0:1], v[5:6]
	v_and_or_b32 v7, v8, 63, v7
	v_lshlrev_b32_e32 v7, 2, v7
	v_cndmask_b32_e32 v1, v1, v6, vcc
	v_cndmask_b32_e32 v0, v0, v5, vcc
	ds_bpermute_b32 v5, v10, v0
	ds_bpermute_b32 v6, v10, v1
	v_cmp_gt_i32_e32 vcc, s2, v9
	s_waitcnt lgkmcnt(0)
	v_add_f64 v[5:6], v[0:1], v[5:6]
	v_cndmask_b32_e32 v1, v1, v6, vcc
	v_cndmask_b32_e32 v0, v0, v5, vcc
	ds_bpermute_b32 v5, v7, v0
	ds_bpermute_b32 v6, v7, v1
	v_cmp_gt_i32_e32 vcc, s2, v8
	s_waitcnt lgkmcnt(0)
	v_add_f64 v[5:6], v[0:1], v[5:6]
	v_cndmask_b32_e32 v1, v1, v6, vcc
	v_cndmask_b32_e32 v0, v0, v5, vcc
	s_cbranch_execnz .LBB5_9
.LBB5_8:
	v_and_b32_e32 v0, 64, v2
	v_add_u32_e32 v7, 64, v0
	v_xor_b32_e32 v0, 1, v2
	v_cmp_lt_i32_e32 vcc, v0, v7
	v_cndmask_b32_e32 v0, v2, v0, vcc
	v_lshlrev_b32_e32 v1, 2, v0
	ds_bpermute_b32 v0, v1, v3
	ds_bpermute_b32 v1, v1, v4
	v_xor_b32_e32 v5, 2, v2
	v_cmp_lt_i32_e32 vcc, v5, v7
	v_cndmask_b32_e32 v5, v2, v5, vcc
	v_lshlrev_b32_e32 v6, 2, v5
	s_waitcnt lgkmcnt(0)
	v_add_f64 v[0:1], v[3:4], v[0:1]
	ds_bpermute_b32 v5, v6, v0
	ds_bpermute_b32 v6, v6, v1
	s_waitcnt lgkmcnt(0)
	v_add_f64 v[0:1], v[0:1], v[5:6]
	v_xor_b32_e32 v5, 4, v2
	v_cmp_lt_i32_e32 vcc, v5, v7
	v_cndmask_b32_e32 v5, v2, v5, vcc
	v_lshlrev_b32_e32 v6, 2, v5
	ds_bpermute_b32 v5, v6, v0
	ds_bpermute_b32 v6, v6, v1
	s_waitcnt lgkmcnt(0)
	v_add_f64 v[0:1], v[0:1], v[5:6]
	v_xor_b32_e32 v5, 8, v2
	v_cmp_lt_i32_e32 vcc, v5, v7
	v_cndmask_b32_e32 v5, v2, v5, vcc
	v_lshlrev_b32_e32 v6, 2, v5
	;; [unrolled: 8-line block ×4, first 2 shown]
	ds_bpermute_b32 v5, v6, v0
	ds_bpermute_b32 v6, v6, v1
	s_waitcnt lgkmcnt(0)
	v_add_f64 v[0:1], v[0:1], v[5:6]
.LBB5_9:
	v_ashrrev_i32_e32 v12, 31, v11
	s_load_dword s1, s[4:5], 0x80
	v_lshrrev_b32_e32 v5, 26, v12
	v_add_u32_e32 v5, v11, v5
	v_ashrrev_i32_e32 v13, 6, v5
	v_and_b32_e32 v5, 0xffffffc0, v5
	v_sub_u32_e32 v5, v11, v5
	s_cmp_gt_i32 s2, 64
	s_cselect_b64 s[14:15], -1, 0
	s_cmpk_lt_i32 s2, 0x41
	v_ashrrev_i32_e32 v6, 31, v5
	s_cbranch_scc1 .LBB5_17
; %bb.10:
	v_cmp_eq_u32_e32 vcc, 0, v5
	s_and_saveexec_b64 s[4:5], vcc
; %bb.11:
	v_lshlrev_b32_e32 v7, 3, v13
	ds_write_b64 v7, v[0:1]
; %bb.12:
	s_or_b64 exec, exec, s[4:5]
	v_add_co_u32_e32 v7, vcc, 63, v11
	v_addc_co_u32_e32 v8, vcc, 0, v12, vcc
	s_mov_b64 s[4:5], 0x7f
	v_cmp_gt_u64_e32 vcc, s[4:5], v[7:8]
	s_waitcnt lgkmcnt(0)
	s_barrier
	s_and_saveexec_b64 s[4:5], vcc
	s_cbranch_execz .LBB5_16
; %bb.13:
	v_lshlrev_b64 v[0:1], 6, v[5:6]
	v_cmp_gt_i64_e32 vcc, s[2:3], v[0:1]
	v_mov_b32_e32 v0, s20
	v_mov_b32_e32 v1, s21
	s_and_saveexec_b64 s[24:25], vcc
; %bb.14:
	v_lshlrev_b32_e32 v0, 3, v5
	ds_read_b64 v[0:1], v0
; %bb.15:
	s_or_b64 exec, exec, s[24:25]
	v_and_b32_e32 v7, 64, v2
	v_add_u32_e32 v9, 64, v7
	v_xor_b32_e32 v7, 1, v2
	v_cmp_lt_i32_e32 vcc, v7, v9
	v_cndmask_b32_e32 v7, v2, v7, vcc
	v_lshlrev_b32_e32 v8, 2, v7
	s_waitcnt lgkmcnt(0)
	ds_bpermute_b32 v7, v8, v0
	ds_bpermute_b32 v8, v8, v1
	s_waitcnt lgkmcnt(0)
	v_add_f64 v[0:1], v[0:1], v[7:8]
	v_xor_b32_e32 v7, 2, v2
	v_cmp_lt_i32_e32 vcc, v7, v9
	v_cndmask_b32_e32 v7, v2, v7, vcc
	v_lshlrev_b32_e32 v8, 2, v7
	ds_bpermute_b32 v7, v8, v0
	ds_bpermute_b32 v8, v8, v1
	s_waitcnt lgkmcnt(0)
	v_add_f64 v[0:1], v[0:1], v[7:8]
	v_xor_b32_e32 v7, 4, v2
	v_cmp_lt_i32_e32 vcc, v7, v9
	v_cndmask_b32_e32 v7, v2, v7, vcc
	v_lshlrev_b32_e32 v8, 2, v7
	;; [unrolled: 8-line block ×3, first 2 shown]
	ds_bpermute_b32 v7, v8, v0
	ds_bpermute_b32 v8, v8, v1
	s_waitcnt lgkmcnt(0)
	v_add_f64 v[0:1], v[0:1], v[7:8]
.LBB5_16:
	s_or_b64 exec, exec, s[4:5]
	s_barrier
.LBB5_17:
	s_mul_i32 s0, s16, s0
	s_mul_i32 s4, s17, s16
	s_add_i32 s0, s0, s6
	s_mul_i32 s5, s4, s8
	s_add_i32 s0, s0, s5
	s_waitcnt lgkmcnt(0)
	s_mul_i32 s6, s1, s4
	s_ashr_i32 s1, s0, 31
	s_lshr_b32 s1, s1, 27
	s_add_i32 s8, s0, s1
	s_and_b32 s1, s8, 0xffffffe0
	s_sub_i32 s4, s0, s1
	s_ashr_i32 s0, s6, 31
	s_lshr_b32 s0, s0, 27
	s_add_i32 s0, s6, s0
	s_ashr_i32 s5, s0, 5
	s_andn2_b32 s0, s0, 31
	s_sub_i32 s0, s6, s0
	s_cmp_lt_i32 s4, s0
	s_cselect_b64 s[0:1], -1, 0
	s_cmp_lg_u64 s[0:1], 0
	s_addc_u32 s5, s5, 0
	s_cmp_gt_u32 s5, 1
	v_cmp_eq_u32_e64 s[0:1], 0, v11
	s_cbranch_scc0 .LBB5_38
; %bb.18:
	s_add_i32 s6, s6, 31
	s_ashr_i32 s7, s6, 31
	s_lshr_b32 s7, s7, 27
	s_add_i32 s6, s6, s7
	s_ashr_i32 s16, s6, 5
	s_mul_i32 s16, s16, s4
	s_and_saveexec_b64 s[6:7], s[0:1]
	s_cbranch_execz .LBB5_20
; %bb.19:
	s_ashr_i32 s9, s8, 5
	s_add_i32 s24, s16, s9
	s_ashr_i32 s25, s24, 31
	s_lshl_b32 s8, s4, 3
	s_lshl_b64 s[24:25], s[24:25], 3
	s_add_u32 s24, s10, s24
	s_addc_u32 s25, s11, s25
	s_ashr_i32 s9, s8, 31
	s_lshl_b64 s[8:9], s[8:9], 2
	v_mov_b32_e32 v7, s24
	s_add_u32 s8, s22, s8
	v_mov_b32_e32 v8, s25
	s_addc_u32 s9, s23, s9
	s_add_i32 s17, s5, -1
	flat_store_dwordx2 v[7:8], v[0:1]
	v_mov_b32_e32 v7, 0
	v_mov_b32_e32 v8, s17
	s_waitcnt vmcnt(0) lgkmcnt(0)
	global_atomic_inc v8, v7, v8, s[8:9] glc
	s_waitcnt vmcnt(0)
	v_cmp_eq_u32_e32 vcc, s17, v8
	v_cndmask_b32_e64 v8, 0, 1, vcc
	ds_write_b8 v7, v8 offset:128
.LBB5_20:
	s_or_b64 exec, exec, s[6:7]
	v_mov_b32_e32 v7, 0
	s_waitcnt lgkmcnt(0)
	s_barrier
	ds_read_u8 v7, v7 offset:128
	s_mov_b64 s[6:7], 0
	s_waitcnt lgkmcnt(0)
	v_and_b32_e32 v7, 1, v7
	v_cmp_eq_u32_e32 vcc, 0, v7
	v_mov_b32_e32 v8, v4
	v_mov_b32_e32 v7, v3
	s_cbranch_vccnz .LBB5_37
; %bb.21:
	v_mov_b32_e32 v7, s20
	v_cmp_gt_u32_e32 vcc, s5, v11
	v_mov_b32_e32 v8, s21
	s_and_saveexec_b64 s[6:7], vcc
	s_cbranch_execz .LBB5_25
; %bb.22:
	v_mov_b32_e32 v7, s20
	s_mov_b64 s[8:9], 0
	v_mov_b32_e32 v8, s21
	v_mov_b32_e32 v10, 0
	v_mov_b32_e32 v14, s11
	v_mov_b32_e32 v15, v11
.LBB5_23:                               ; =>This Inner Loop Header: Depth=1
	v_add_u32_e32 v9, s16, v15
	v_lshlrev_b64 v[16:17], 3, v[9:10]
	v_add_u32_e32 v15, s2, v15
	v_add_co_u32_e32 v16, vcc, s10, v16
	v_addc_co_u32_e32 v17, vcc, v14, v17, vcc
	flat_load_dwordx2 v[16:17], v[16:17] glc
	v_cmp_le_u32_e32 vcc, s5, v15
	s_or_b64 s[8:9], vcc, s[8:9]
	s_waitcnt vmcnt(0) lgkmcnt(0)
	v_add_f64 v[7:8], v[7:8], v[16:17]
	s_andn2_b64 exec, exec, s[8:9]
	s_cbranch_execnz .LBB5_23
; %bb.24:
	s_or_b64 exec, exec, s[8:9]
.LBB5_25:
	s_or_b64 exec, exec, s[6:7]
	s_andn2_b64 vcc, exec, s[12:13]
	s_cbranch_vccnz .LBB5_43
; %bb.26:
	v_and_b32_e32 v16, 64, v2
	v_xor_b32_e32 v14, 1, v11
	v_and_or_b32 v9, v14, 63, v16
	v_lshlrev_b32_e32 v10, 2, v9
	ds_bpermute_b32 v9, v10, v7
	ds_bpermute_b32 v10, v10, v8
	v_xor_b32_e32 v17, 2, v11
	v_and_or_b32 v15, v17, 63, v16
	v_cmp_gt_i32_e32 vcc, s2, v14
	v_lshlrev_b32_e32 v15, 2, v15
	s_waitcnt lgkmcnt(0)
	v_add_f64 v[9:10], v[7:8], v[9:10]
	v_xor_b32_e32 v18, 4, v11
	v_and_or_b32 v19, v18, 63, v16
	v_lshlrev_b32_e32 v19, 2, v19
	v_cndmask_b32_e32 v10, v8, v10, vcc
	v_cndmask_b32_e32 v9, v7, v9, vcc
	ds_bpermute_b32 v14, v15, v9
	ds_bpermute_b32 v15, v15, v10
	v_cmp_gt_i32_e32 vcc, s2, v17
	v_xor_b32_e32 v17, 8, v11
	s_waitcnt lgkmcnt(0)
	v_add_f64 v[14:15], v[9:10], v[14:15]
	v_cndmask_b32_e32 v10, v10, v15, vcc
	v_cndmask_b32_e32 v9, v9, v14, vcc
	ds_bpermute_b32 v14, v19, v9
	ds_bpermute_b32 v15, v19, v10
	v_and_or_b32 v19, v17, 63, v16
	v_cmp_gt_i32_e32 vcc, s2, v18
	v_lshlrev_b32_e32 v19, 2, v19
	v_xor_b32_e32 v18, 16, v11
	s_waitcnt lgkmcnt(0)
	v_add_f64 v[14:15], v[9:10], v[14:15]
	v_cndmask_b32_e32 v10, v10, v15, vcc
	v_cndmask_b32_e32 v9, v9, v14, vcc
	ds_bpermute_b32 v14, v19, v9
	ds_bpermute_b32 v15, v19, v10
	v_and_or_b32 v19, v18, 63, v16
	v_cmp_gt_i32_e32 vcc, s2, v17
	v_lshlrev_b32_e32 v19, 2, v19
	v_xor_b32_e32 v17, 32, v11
	s_waitcnt lgkmcnt(0)
	v_add_f64 v[14:15], v[9:10], v[14:15]
	v_and_or_b32 v16, v17, 63, v16
	v_lshlrev_b32_e32 v16, 2, v16
	v_cndmask_b32_e32 v10, v10, v15, vcc
	v_cndmask_b32_e32 v9, v9, v14, vcc
	ds_bpermute_b32 v14, v19, v9
	ds_bpermute_b32 v15, v19, v10
	v_cmp_gt_i32_e32 vcc, s2, v18
	s_waitcnt lgkmcnt(0)
	v_add_f64 v[14:15], v[9:10], v[14:15]
	v_cndmask_b32_e32 v10, v10, v15, vcc
	v_cndmask_b32_e32 v9, v9, v14, vcc
	ds_bpermute_b32 v14, v16, v9
	ds_bpermute_b32 v15, v16, v10
	v_cmp_gt_i32_e32 vcc, s2, v17
	s_waitcnt lgkmcnt(0)
	v_add_f64 v[14:15], v[9:10], v[14:15]
	v_cndmask_b32_e32 v10, v10, v15, vcc
	v_cndmask_b32_e32 v9, v9, v14, vcc
	s_cbranch_execnz .LBB5_28
.LBB5_27:
	v_and_b32_e32 v9, 64, v2
	v_add_u32_e32 v14, 64, v9
	v_xor_b32_e32 v9, 1, v2
	v_cmp_lt_i32_e32 vcc, v9, v14
	v_cndmask_b32_e32 v9, v2, v9, vcc
	v_lshlrev_b32_e32 v10, 2, v9
	ds_bpermute_b32 v9, v10, v7
	ds_bpermute_b32 v10, v10, v8
	s_waitcnt lgkmcnt(0)
	v_add_f64 v[7:8], v[7:8], v[9:10]
	v_xor_b32_e32 v9, 2, v2
	v_cmp_lt_i32_e32 vcc, v9, v14
	v_cndmask_b32_e32 v9, v2, v9, vcc
	v_lshlrev_b32_e32 v10, 2, v9
	ds_bpermute_b32 v9, v10, v7
	ds_bpermute_b32 v10, v10, v8
	s_waitcnt lgkmcnt(0)
	v_add_f64 v[7:8], v[7:8], v[9:10]
	;; [unrolled: 8-line block ×6, first 2 shown]
.LBB5_28:
	s_andn2_b64 vcc, exec, s[14:15]
	s_cbranch_vccnz .LBB5_36
; %bb.29:
	v_cmp_eq_u32_e32 vcc, 0, v5
	s_and_saveexec_b64 s[6:7], vcc
; %bb.30:
	v_lshlrev_b32_e32 v7, 3, v13
	ds_write_b64 v7, v[9:10]
; %bb.31:
	s_or_b64 exec, exec, s[6:7]
	v_add_co_u32_e32 v7, vcc, 63, v11
	v_addc_co_u32_e32 v8, vcc, 0, v12, vcc
	s_mov_b64 s[6:7], 0x7f
	v_cmp_gt_u64_e32 vcc, s[6:7], v[7:8]
	s_waitcnt lgkmcnt(0)
	s_barrier
	s_and_saveexec_b64 s[6:7], vcc
	s_cbranch_execz .LBB5_35
; %bb.32:
	v_lshlrev_b64 v[6:7], 6, v[5:6]
	v_cmp_gt_i64_e32 vcc, s[2:3], v[6:7]
	v_mov_b32_e32 v6, s20
	v_mov_b32_e32 v7, s21
	s_and_saveexec_b64 s[2:3], vcc
; %bb.33:
	v_lshlrev_b32_e32 v5, 3, v5
	ds_read_b64 v[6:7], v5
; %bb.34:
	s_or_b64 exec, exec, s[2:3]
	v_and_b32_e32 v5, 64, v2
	v_add_u32_e32 v10, 64, v5
	v_xor_b32_e32 v5, 1, v2
	v_cmp_lt_i32_e32 vcc, v5, v10
	v_cndmask_b32_e32 v5, v2, v5, vcc
	v_lshlrev_b32_e32 v5, 2, v5
	s_waitcnt lgkmcnt(0)
	ds_bpermute_b32 v8, v5, v6
	ds_bpermute_b32 v9, v5, v7
	s_waitcnt lgkmcnt(0)
	v_add_f64 v[5:6], v[6:7], v[8:9]
	v_xor_b32_e32 v7, 2, v2
	v_cmp_lt_i32_e32 vcc, v7, v10
	v_cndmask_b32_e32 v7, v2, v7, vcc
	v_lshlrev_b32_e32 v8, 2, v7
	ds_bpermute_b32 v7, v8, v5
	ds_bpermute_b32 v8, v8, v6
	s_waitcnt lgkmcnt(0)
	v_add_f64 v[5:6], v[5:6], v[7:8]
	v_xor_b32_e32 v7, 4, v2
	v_cmp_lt_i32_e32 vcc, v7, v10
	v_cndmask_b32_e32 v7, v2, v7, vcc
	v_lshlrev_b32_e32 v8, 2, v7
	ds_bpermute_b32 v7, v8, v5
	ds_bpermute_b32 v8, v8, v6
	s_waitcnt lgkmcnt(0)
	v_add_f64 v[5:6], v[5:6], v[7:8]
	v_xor_b32_e32 v7, 8, v2
	v_cmp_lt_i32_e32 vcc, v7, v10
	v_cndmask_b32_e32 v2, v2, v7, vcc
	v_lshlrev_b32_e32 v2, 2, v2
	ds_bpermute_b32 v7, v2, v5
	ds_bpermute_b32 v8, v2, v6
	s_waitcnt lgkmcnt(0)
	v_add_f64 v[9:10], v[5:6], v[7:8]
.LBB5_35:
	s_or_b64 exec, exec, s[6:7]
	s_barrier
.LBB5_36:
	v_mov_b32_e32 v2, 0
	ds_read_u8 v2, v2 offset:128
	v_cndmask_b32_e64 v8, v4, v10, s[0:1]
	v_cndmask_b32_e64 v7, v3, v9, s[0:1]
	s_waitcnt lgkmcnt(0)
	v_and_b32_e32 v2, 1, v2
	v_cmp_eq_u32_e64 s[6:7], 1, v2
.LBB5_37:
	s_and_b64 s[2:3], s[0:1], s[6:7]
	s_branch .LBB5_40
.LBB5_38:
                                        ; implicit-def: $sgpr2_sgpr3
                                        ; implicit-def: $vgpr7_vgpr8
	s_cbranch_execz .LBB5_40
; %bb.39:
	v_cndmask_b32_e64 v8, v4, v1, s[0:1]
	v_cndmask_b32_e64 v7, v3, v0, s[0:1]
	s_andn2_b64 s[2:3], s[2:3], exec
	s_and_b64 s[0:1], s[0:1], exec
	s_or_b64 s[2:3], s[2:3], s[0:1]
.LBB5_40:
	s_and_saveexec_b64 s[0:1], s[2:3]
	s_cbranch_execz .LBB5_5
; %bb.41:
	s_ashr_i32 s5, s4, 31
	s_lshl_b64 s[0:1], s[4:5], 3
	s_add_u32 s0, s18, s0
	s_addc_u32 s1, s19, s1
	v_mov_b32_e32 v0, s0
	v_mov_b32_e32 v1, s1
	flat_store_dwordx2 v[0:1], v[7:8]
	s_endpgm
.LBB5_42:
                                        ; implicit-def: $vgpr0_vgpr1
	s_branch .LBB5_8
.LBB5_43:
                                        ; implicit-def: $vgpr9_vgpr10
	s_branch .LBB5_27
	.section	.rodata,"a",@progbits
	.p2align	6, 0x0
	.amdhsa_kernel _ZN4RAJA6policy3hip4impl18forallp_hip_kernelINS1_8hip_execINS_17iteration_mapping11StridedLoopILm0EEENS_3hip11IndexGlobalILNS_9named_dimE0ELi256ELi0EEENS8_40AvoidDeviceMaxThreadOccupancyConcretizerINS8_34FractionOffsetOccupancyConcretizerINS_8FractionImLm1ELm1EEELln1EEEEELb1EEENS_9Iterators16numeric_iteratorIllPlEEZN8rajaperf5basic8TRAP_INT17runHipVariantRAJAILm256ENSN_13gpu_algorithm19block_device_helperENSN_11gpu_mapping40global_loop_occupancy_grid_stride_helperEEEvNSN_9VariantIDEEUllE_lNS_4expt15ForallParamPackIJEEES7_SB_TnNSt9enable_ifIXaaaasr3std10is_base_ofINS5_15StridedLoopBaseET4_EE5valuesr3std10is_base_ofINS5_15UnsizedLoopBaseES12_EE5valuegtsrT5_10block_sizeLi0EEmE4typeELm256EEEvT1_T0_T2_T3_
		.amdhsa_group_segment_fixed_size 129
		.amdhsa_private_segment_fixed_size 0
		.amdhsa_kernarg_size 376
		.amdhsa_user_sgpr_count 6
		.amdhsa_user_sgpr_private_segment_buffer 1
		.amdhsa_user_sgpr_dispatch_ptr 0
		.amdhsa_user_sgpr_queue_ptr 0
		.amdhsa_user_sgpr_kernarg_segment_ptr 1
		.amdhsa_user_sgpr_dispatch_id 0
		.amdhsa_user_sgpr_flat_scratch_init 0
		.amdhsa_user_sgpr_private_segment_size 0
		.amdhsa_uses_dynamic_stack 0
		.amdhsa_system_sgpr_private_segment_wavefront_offset 0
		.amdhsa_system_sgpr_workgroup_id_x 1
		.amdhsa_system_sgpr_workgroup_id_y 1
		.amdhsa_system_sgpr_workgroup_id_z 1
		.amdhsa_system_sgpr_workgroup_info 0
		.amdhsa_system_vgpr_workitem_id 2
		.amdhsa_next_free_vgpr 26
		.amdhsa_next_free_sgpr 38
		.amdhsa_reserve_vcc 1
		.amdhsa_reserve_flat_scratch 0
		.amdhsa_float_round_mode_32 0
		.amdhsa_float_round_mode_16_64 0
		.amdhsa_float_denorm_mode_32 3
		.amdhsa_float_denorm_mode_16_64 3
		.amdhsa_dx10_clamp 1
		.amdhsa_ieee_mode 1
		.amdhsa_fp16_overflow 0
		.amdhsa_exception_fp_ieee_invalid_op 0
		.amdhsa_exception_fp_denorm_src 0
		.amdhsa_exception_fp_ieee_div_zero 0
		.amdhsa_exception_fp_ieee_overflow 0
		.amdhsa_exception_fp_ieee_underflow 0
		.amdhsa_exception_fp_ieee_inexact 0
		.amdhsa_exception_int_div_zero 0
	.end_amdhsa_kernel
	.section	.text._ZN4RAJA6policy3hip4impl18forallp_hip_kernelINS1_8hip_execINS_17iteration_mapping11StridedLoopILm0EEENS_3hip11IndexGlobalILNS_9named_dimE0ELi256ELi0EEENS8_40AvoidDeviceMaxThreadOccupancyConcretizerINS8_34FractionOffsetOccupancyConcretizerINS_8FractionImLm1ELm1EEELln1EEEEELb1EEENS_9Iterators16numeric_iteratorIllPlEEZN8rajaperf5basic8TRAP_INT17runHipVariantRAJAILm256ENSN_13gpu_algorithm19block_device_helperENSN_11gpu_mapping40global_loop_occupancy_grid_stride_helperEEEvNSN_9VariantIDEEUllE_lNS_4expt15ForallParamPackIJEEES7_SB_TnNSt9enable_ifIXaaaasr3std10is_base_ofINS5_15StridedLoopBaseET4_EE5valuesr3std10is_base_ofINS5_15UnsizedLoopBaseES12_EE5valuegtsrT5_10block_sizeLi0EEmE4typeELm256EEEvT1_T0_T2_T3_,"axG",@progbits,_ZN4RAJA6policy3hip4impl18forallp_hip_kernelINS1_8hip_execINS_17iteration_mapping11StridedLoopILm0EEENS_3hip11IndexGlobalILNS_9named_dimE0ELi256ELi0EEENS8_40AvoidDeviceMaxThreadOccupancyConcretizerINS8_34FractionOffsetOccupancyConcretizerINS_8FractionImLm1ELm1EEELln1EEEEELb1EEENS_9Iterators16numeric_iteratorIllPlEEZN8rajaperf5basic8TRAP_INT17runHipVariantRAJAILm256ENSN_13gpu_algorithm19block_device_helperENSN_11gpu_mapping40global_loop_occupancy_grid_stride_helperEEEvNSN_9VariantIDEEUllE_lNS_4expt15ForallParamPackIJEEES7_SB_TnNSt9enable_ifIXaaaasr3std10is_base_ofINS5_15StridedLoopBaseET4_EE5valuesr3std10is_base_ofINS5_15UnsizedLoopBaseES12_EE5valuegtsrT5_10block_sizeLi0EEmE4typeELm256EEEvT1_T0_T2_T3_,comdat
.Lfunc_end5:
	.size	_ZN4RAJA6policy3hip4impl18forallp_hip_kernelINS1_8hip_execINS_17iteration_mapping11StridedLoopILm0EEENS_3hip11IndexGlobalILNS_9named_dimE0ELi256ELi0EEENS8_40AvoidDeviceMaxThreadOccupancyConcretizerINS8_34FractionOffsetOccupancyConcretizerINS_8FractionImLm1ELm1EEELln1EEEEELb1EEENS_9Iterators16numeric_iteratorIllPlEEZN8rajaperf5basic8TRAP_INT17runHipVariantRAJAILm256ENSN_13gpu_algorithm19block_device_helperENSN_11gpu_mapping40global_loop_occupancy_grid_stride_helperEEEvNSN_9VariantIDEEUllE_lNS_4expt15ForallParamPackIJEEES7_SB_TnNSt9enable_ifIXaaaasr3std10is_base_ofINS5_15StridedLoopBaseET4_EE5valuesr3std10is_base_ofINS5_15UnsizedLoopBaseES12_EE5valuegtsrT5_10block_sizeLi0EEmE4typeELm256EEEvT1_T0_T2_T3_, .Lfunc_end5-_ZN4RAJA6policy3hip4impl18forallp_hip_kernelINS1_8hip_execINS_17iteration_mapping11StridedLoopILm0EEENS_3hip11IndexGlobalILNS_9named_dimE0ELi256ELi0EEENS8_40AvoidDeviceMaxThreadOccupancyConcretizerINS8_34FractionOffsetOccupancyConcretizerINS_8FractionImLm1ELm1EEELln1EEEEELb1EEENS_9Iterators16numeric_iteratorIllPlEEZN8rajaperf5basic8TRAP_INT17runHipVariantRAJAILm256ENSN_13gpu_algorithm19block_device_helperENSN_11gpu_mapping40global_loop_occupancy_grid_stride_helperEEEvNSN_9VariantIDEEUllE_lNS_4expt15ForallParamPackIJEEES7_SB_TnNSt9enable_ifIXaaaasr3std10is_base_ofINS5_15StridedLoopBaseET4_EE5valuesr3std10is_base_ofINS5_15UnsizedLoopBaseES12_EE5valuegtsrT5_10block_sizeLi0EEmE4typeELm256EEEvT1_T0_T2_T3_
                                        ; -- End function
	.set _ZN4RAJA6policy3hip4impl18forallp_hip_kernelINS1_8hip_execINS_17iteration_mapping11StridedLoopILm0EEENS_3hip11IndexGlobalILNS_9named_dimE0ELi256ELi0EEENS8_40AvoidDeviceMaxThreadOccupancyConcretizerINS8_34FractionOffsetOccupancyConcretizerINS_8FractionImLm1ELm1EEELln1EEEEELb1EEENS_9Iterators16numeric_iteratorIllPlEEZN8rajaperf5basic8TRAP_INT17runHipVariantRAJAILm256ENSN_13gpu_algorithm19block_device_helperENSN_11gpu_mapping40global_loop_occupancy_grid_stride_helperEEEvNSN_9VariantIDEEUllE_lNS_4expt15ForallParamPackIJEEES7_SB_TnNSt9enable_ifIXaaaasr3std10is_base_ofINS5_15StridedLoopBaseET4_EE5valuesr3std10is_base_ofINS5_15UnsizedLoopBaseES12_EE5valuegtsrT5_10block_sizeLi0EEmE4typeELm256EEEvT1_T0_T2_T3_.num_vgpr, 26
	.set _ZN4RAJA6policy3hip4impl18forallp_hip_kernelINS1_8hip_execINS_17iteration_mapping11StridedLoopILm0EEENS_3hip11IndexGlobalILNS_9named_dimE0ELi256ELi0EEENS8_40AvoidDeviceMaxThreadOccupancyConcretizerINS8_34FractionOffsetOccupancyConcretizerINS_8FractionImLm1ELm1EEELln1EEEEELb1EEENS_9Iterators16numeric_iteratorIllPlEEZN8rajaperf5basic8TRAP_INT17runHipVariantRAJAILm256ENSN_13gpu_algorithm19block_device_helperENSN_11gpu_mapping40global_loop_occupancy_grid_stride_helperEEEvNSN_9VariantIDEEUllE_lNS_4expt15ForallParamPackIJEEES7_SB_TnNSt9enable_ifIXaaaasr3std10is_base_ofINS5_15StridedLoopBaseET4_EE5valuesr3std10is_base_ofINS5_15UnsizedLoopBaseES12_EE5valuegtsrT5_10block_sizeLi0EEmE4typeELm256EEEvT1_T0_T2_T3_.num_agpr, 0
	.set _ZN4RAJA6policy3hip4impl18forallp_hip_kernelINS1_8hip_execINS_17iteration_mapping11StridedLoopILm0EEENS_3hip11IndexGlobalILNS_9named_dimE0ELi256ELi0EEENS8_40AvoidDeviceMaxThreadOccupancyConcretizerINS8_34FractionOffsetOccupancyConcretizerINS_8FractionImLm1ELm1EEELln1EEEEELb1EEENS_9Iterators16numeric_iteratorIllPlEEZN8rajaperf5basic8TRAP_INT17runHipVariantRAJAILm256ENSN_13gpu_algorithm19block_device_helperENSN_11gpu_mapping40global_loop_occupancy_grid_stride_helperEEEvNSN_9VariantIDEEUllE_lNS_4expt15ForallParamPackIJEEES7_SB_TnNSt9enable_ifIXaaaasr3std10is_base_ofINS5_15StridedLoopBaseET4_EE5valuesr3std10is_base_ofINS5_15UnsizedLoopBaseES12_EE5valuegtsrT5_10block_sizeLi0EEmE4typeELm256EEEvT1_T0_T2_T3_.numbered_sgpr, 38
	.set _ZN4RAJA6policy3hip4impl18forallp_hip_kernelINS1_8hip_execINS_17iteration_mapping11StridedLoopILm0EEENS_3hip11IndexGlobalILNS_9named_dimE0ELi256ELi0EEENS8_40AvoidDeviceMaxThreadOccupancyConcretizerINS8_34FractionOffsetOccupancyConcretizerINS_8FractionImLm1ELm1EEELln1EEEEELb1EEENS_9Iterators16numeric_iteratorIllPlEEZN8rajaperf5basic8TRAP_INT17runHipVariantRAJAILm256ENSN_13gpu_algorithm19block_device_helperENSN_11gpu_mapping40global_loop_occupancy_grid_stride_helperEEEvNSN_9VariantIDEEUllE_lNS_4expt15ForallParamPackIJEEES7_SB_TnNSt9enable_ifIXaaaasr3std10is_base_ofINS5_15StridedLoopBaseET4_EE5valuesr3std10is_base_ofINS5_15UnsizedLoopBaseES12_EE5valuegtsrT5_10block_sizeLi0EEmE4typeELm256EEEvT1_T0_T2_T3_.num_named_barrier, 0
	.set _ZN4RAJA6policy3hip4impl18forallp_hip_kernelINS1_8hip_execINS_17iteration_mapping11StridedLoopILm0EEENS_3hip11IndexGlobalILNS_9named_dimE0ELi256ELi0EEENS8_40AvoidDeviceMaxThreadOccupancyConcretizerINS8_34FractionOffsetOccupancyConcretizerINS_8FractionImLm1ELm1EEELln1EEEEELb1EEENS_9Iterators16numeric_iteratorIllPlEEZN8rajaperf5basic8TRAP_INT17runHipVariantRAJAILm256ENSN_13gpu_algorithm19block_device_helperENSN_11gpu_mapping40global_loop_occupancy_grid_stride_helperEEEvNSN_9VariantIDEEUllE_lNS_4expt15ForallParamPackIJEEES7_SB_TnNSt9enable_ifIXaaaasr3std10is_base_ofINS5_15StridedLoopBaseET4_EE5valuesr3std10is_base_ofINS5_15UnsizedLoopBaseES12_EE5valuegtsrT5_10block_sizeLi0EEmE4typeELm256EEEvT1_T0_T2_T3_.private_seg_size, 0
	.set _ZN4RAJA6policy3hip4impl18forallp_hip_kernelINS1_8hip_execINS_17iteration_mapping11StridedLoopILm0EEENS_3hip11IndexGlobalILNS_9named_dimE0ELi256ELi0EEENS8_40AvoidDeviceMaxThreadOccupancyConcretizerINS8_34FractionOffsetOccupancyConcretizerINS_8FractionImLm1ELm1EEELln1EEEEELb1EEENS_9Iterators16numeric_iteratorIllPlEEZN8rajaperf5basic8TRAP_INT17runHipVariantRAJAILm256ENSN_13gpu_algorithm19block_device_helperENSN_11gpu_mapping40global_loop_occupancy_grid_stride_helperEEEvNSN_9VariantIDEEUllE_lNS_4expt15ForallParamPackIJEEES7_SB_TnNSt9enable_ifIXaaaasr3std10is_base_ofINS5_15StridedLoopBaseET4_EE5valuesr3std10is_base_ofINS5_15UnsizedLoopBaseES12_EE5valuegtsrT5_10block_sizeLi0EEmE4typeELm256EEEvT1_T0_T2_T3_.uses_vcc, 1
	.set _ZN4RAJA6policy3hip4impl18forallp_hip_kernelINS1_8hip_execINS_17iteration_mapping11StridedLoopILm0EEENS_3hip11IndexGlobalILNS_9named_dimE0ELi256ELi0EEENS8_40AvoidDeviceMaxThreadOccupancyConcretizerINS8_34FractionOffsetOccupancyConcretizerINS_8FractionImLm1ELm1EEELln1EEEEELb1EEENS_9Iterators16numeric_iteratorIllPlEEZN8rajaperf5basic8TRAP_INT17runHipVariantRAJAILm256ENSN_13gpu_algorithm19block_device_helperENSN_11gpu_mapping40global_loop_occupancy_grid_stride_helperEEEvNSN_9VariantIDEEUllE_lNS_4expt15ForallParamPackIJEEES7_SB_TnNSt9enable_ifIXaaaasr3std10is_base_ofINS5_15StridedLoopBaseET4_EE5valuesr3std10is_base_ofINS5_15UnsizedLoopBaseES12_EE5valuegtsrT5_10block_sizeLi0EEmE4typeELm256EEEvT1_T0_T2_T3_.uses_flat_scratch, 0
	.set _ZN4RAJA6policy3hip4impl18forallp_hip_kernelINS1_8hip_execINS_17iteration_mapping11StridedLoopILm0EEENS_3hip11IndexGlobalILNS_9named_dimE0ELi256ELi0EEENS8_40AvoidDeviceMaxThreadOccupancyConcretizerINS8_34FractionOffsetOccupancyConcretizerINS_8FractionImLm1ELm1EEELln1EEEEELb1EEENS_9Iterators16numeric_iteratorIllPlEEZN8rajaperf5basic8TRAP_INT17runHipVariantRAJAILm256ENSN_13gpu_algorithm19block_device_helperENSN_11gpu_mapping40global_loop_occupancy_grid_stride_helperEEEvNSN_9VariantIDEEUllE_lNS_4expt15ForallParamPackIJEEES7_SB_TnNSt9enable_ifIXaaaasr3std10is_base_ofINS5_15StridedLoopBaseET4_EE5valuesr3std10is_base_ofINS5_15UnsizedLoopBaseES12_EE5valuegtsrT5_10block_sizeLi0EEmE4typeELm256EEEvT1_T0_T2_T3_.has_dyn_sized_stack, 0
	.set _ZN4RAJA6policy3hip4impl18forallp_hip_kernelINS1_8hip_execINS_17iteration_mapping11StridedLoopILm0EEENS_3hip11IndexGlobalILNS_9named_dimE0ELi256ELi0EEENS8_40AvoidDeviceMaxThreadOccupancyConcretizerINS8_34FractionOffsetOccupancyConcretizerINS_8FractionImLm1ELm1EEELln1EEEEELb1EEENS_9Iterators16numeric_iteratorIllPlEEZN8rajaperf5basic8TRAP_INT17runHipVariantRAJAILm256ENSN_13gpu_algorithm19block_device_helperENSN_11gpu_mapping40global_loop_occupancy_grid_stride_helperEEEvNSN_9VariantIDEEUllE_lNS_4expt15ForallParamPackIJEEES7_SB_TnNSt9enable_ifIXaaaasr3std10is_base_ofINS5_15StridedLoopBaseET4_EE5valuesr3std10is_base_ofINS5_15UnsizedLoopBaseES12_EE5valuegtsrT5_10block_sizeLi0EEmE4typeELm256EEEvT1_T0_T2_T3_.has_recursion, 0
	.set _ZN4RAJA6policy3hip4impl18forallp_hip_kernelINS1_8hip_execINS_17iteration_mapping11StridedLoopILm0EEENS_3hip11IndexGlobalILNS_9named_dimE0ELi256ELi0EEENS8_40AvoidDeviceMaxThreadOccupancyConcretizerINS8_34FractionOffsetOccupancyConcretizerINS_8FractionImLm1ELm1EEELln1EEEEELb1EEENS_9Iterators16numeric_iteratorIllPlEEZN8rajaperf5basic8TRAP_INT17runHipVariantRAJAILm256ENSN_13gpu_algorithm19block_device_helperENSN_11gpu_mapping40global_loop_occupancy_grid_stride_helperEEEvNSN_9VariantIDEEUllE_lNS_4expt15ForallParamPackIJEEES7_SB_TnNSt9enable_ifIXaaaasr3std10is_base_ofINS5_15StridedLoopBaseET4_EE5valuesr3std10is_base_ofINS5_15UnsizedLoopBaseES12_EE5valuegtsrT5_10block_sizeLi0EEmE4typeELm256EEEvT1_T0_T2_T3_.has_indirect_call, 0
	.section	.AMDGPU.csdata,"",@progbits
; Kernel info:
; codeLenInByte = 3108
; TotalNumSgprs: 42
; NumVgprs: 26
; ScratchSize: 0
; MemoryBound: 0
; FloatMode: 240
; IeeeMode: 1
; LDSByteSize: 129 bytes/workgroup (compile time only)
; SGPRBlocks: 5
; VGPRBlocks: 6
; NumSGPRsForWavesPerEU: 42
; NumVGPRsForWavesPerEU: 26
; Occupancy: 9
; WaveLimiterHint : 1
; COMPUTE_PGM_RSRC2:SCRATCH_EN: 0
; COMPUTE_PGM_RSRC2:USER_SGPR: 6
; COMPUTE_PGM_RSRC2:TRAP_HANDLER: 0
; COMPUTE_PGM_RSRC2:TGID_X_EN: 1
; COMPUTE_PGM_RSRC2:TGID_Y_EN: 1
; COMPUTE_PGM_RSRC2:TGID_Z_EN: 1
; COMPUTE_PGM_RSRC2:TIDIG_COMP_CNT: 2
	.section	.text._ZN4RAJA6policy3hip4impl18forallp_hip_kernelINS1_8hip_execINS_17iteration_mapping11StridedLoopILm0EEENS_3hip11IndexGlobalILNS_9named_dimE0ELi256ELi0EEENS8_40AvoidDeviceMaxThreadOccupancyConcretizerINS8_34FractionOffsetOccupancyConcretizerINS_8FractionImLm1ELm1EEELln1EEEEELb1EEENS_9Iterators16numeric_iteratorIllPlEEZN8rajaperf5basic8TRAP_INT26runHipVariantRAJANewReduceILm256ENSN_11gpu_mapping40global_loop_occupancy_grid_stride_helperEEEvNSN_9VariantIDEEUllRNS_4expt5ValOpIdNS_9operators4plusEEEE_lNSU_15ForallParamPackIJNSU_6detail7ReducerINSX_IdddEEdSY_EEEEES7_SB_TnNSt9enable_ifIXaaaasr3std10is_base_ofINS5_15StridedLoopBaseET4_EE5valuesr3std10is_base_ofINS5_15UnsizedLoopBaseES19_EE5valuegtsrT5_10block_sizeLi0EEmE4typeELm256EEEvT1_T0_T2_T3_,"axG",@progbits,_ZN4RAJA6policy3hip4impl18forallp_hip_kernelINS1_8hip_execINS_17iteration_mapping11StridedLoopILm0EEENS_3hip11IndexGlobalILNS_9named_dimE0ELi256ELi0EEENS8_40AvoidDeviceMaxThreadOccupancyConcretizerINS8_34FractionOffsetOccupancyConcretizerINS_8FractionImLm1ELm1EEELln1EEEEELb1EEENS_9Iterators16numeric_iteratorIllPlEEZN8rajaperf5basic8TRAP_INT26runHipVariantRAJANewReduceILm256ENSN_11gpu_mapping40global_loop_occupancy_grid_stride_helperEEEvNSN_9VariantIDEEUllRNS_4expt5ValOpIdNS_9operators4plusEEEE_lNSU_15ForallParamPackIJNSU_6detail7ReducerINSX_IdddEEdSY_EEEEES7_SB_TnNSt9enable_ifIXaaaasr3std10is_base_ofINS5_15StridedLoopBaseET4_EE5valuesr3std10is_base_ofINS5_15UnsizedLoopBaseES19_EE5valuegtsrT5_10block_sizeLi0EEmE4typeELm256EEEvT1_T0_T2_T3_,comdat
	.protected	_ZN4RAJA6policy3hip4impl18forallp_hip_kernelINS1_8hip_execINS_17iteration_mapping11StridedLoopILm0EEENS_3hip11IndexGlobalILNS_9named_dimE0ELi256ELi0EEENS8_40AvoidDeviceMaxThreadOccupancyConcretizerINS8_34FractionOffsetOccupancyConcretizerINS_8FractionImLm1ELm1EEELln1EEEEELb1EEENS_9Iterators16numeric_iteratorIllPlEEZN8rajaperf5basic8TRAP_INT26runHipVariantRAJANewReduceILm256ENSN_11gpu_mapping40global_loop_occupancy_grid_stride_helperEEEvNSN_9VariantIDEEUllRNS_4expt5ValOpIdNS_9operators4plusEEEE_lNSU_15ForallParamPackIJNSU_6detail7ReducerINSX_IdddEEdSY_EEEEES7_SB_TnNSt9enable_ifIXaaaasr3std10is_base_ofINS5_15StridedLoopBaseET4_EE5valuesr3std10is_base_ofINS5_15UnsizedLoopBaseES19_EE5valuegtsrT5_10block_sizeLi0EEmE4typeELm256EEEvT1_T0_T2_T3_ ; -- Begin function _ZN4RAJA6policy3hip4impl18forallp_hip_kernelINS1_8hip_execINS_17iteration_mapping11StridedLoopILm0EEENS_3hip11IndexGlobalILNS_9named_dimE0ELi256ELi0EEENS8_40AvoidDeviceMaxThreadOccupancyConcretizerINS8_34FractionOffsetOccupancyConcretizerINS_8FractionImLm1ELm1EEELln1EEEEELb1EEENS_9Iterators16numeric_iteratorIllPlEEZN8rajaperf5basic8TRAP_INT26runHipVariantRAJANewReduceILm256ENSN_11gpu_mapping40global_loop_occupancy_grid_stride_helperEEEvNSN_9VariantIDEEUllRNS_4expt5ValOpIdNS_9operators4plusEEEE_lNSU_15ForallParamPackIJNSU_6detail7ReducerINSX_IdddEEdSY_EEEEES7_SB_TnNSt9enable_ifIXaaaasr3std10is_base_ofINS5_15StridedLoopBaseET4_EE5valuesr3std10is_base_ofINS5_15UnsizedLoopBaseES19_EE5valuegtsrT5_10block_sizeLi0EEmE4typeELm256EEEvT1_T0_T2_T3_
	.globl	_ZN4RAJA6policy3hip4impl18forallp_hip_kernelINS1_8hip_execINS_17iteration_mapping11StridedLoopILm0EEENS_3hip11IndexGlobalILNS_9named_dimE0ELi256ELi0EEENS8_40AvoidDeviceMaxThreadOccupancyConcretizerINS8_34FractionOffsetOccupancyConcretizerINS_8FractionImLm1ELm1EEELln1EEEEELb1EEENS_9Iterators16numeric_iteratorIllPlEEZN8rajaperf5basic8TRAP_INT26runHipVariantRAJANewReduceILm256ENSN_11gpu_mapping40global_loop_occupancy_grid_stride_helperEEEvNSN_9VariantIDEEUllRNS_4expt5ValOpIdNS_9operators4plusEEEE_lNSU_15ForallParamPackIJNSU_6detail7ReducerINSX_IdddEEdSY_EEEEES7_SB_TnNSt9enable_ifIXaaaasr3std10is_base_ofINS5_15StridedLoopBaseET4_EE5valuesr3std10is_base_ofINS5_15UnsizedLoopBaseES19_EE5valuegtsrT5_10block_sizeLi0EEmE4typeELm256EEEvT1_T0_T2_T3_
	.p2align	8
	.type	_ZN4RAJA6policy3hip4impl18forallp_hip_kernelINS1_8hip_execINS_17iteration_mapping11StridedLoopILm0EEENS_3hip11IndexGlobalILNS_9named_dimE0ELi256ELi0EEENS8_40AvoidDeviceMaxThreadOccupancyConcretizerINS8_34FractionOffsetOccupancyConcretizerINS_8FractionImLm1ELm1EEELln1EEEEELb1EEENS_9Iterators16numeric_iteratorIllPlEEZN8rajaperf5basic8TRAP_INT26runHipVariantRAJANewReduceILm256ENSN_11gpu_mapping40global_loop_occupancy_grid_stride_helperEEEvNSN_9VariantIDEEUllRNS_4expt5ValOpIdNS_9operators4plusEEEE_lNSU_15ForallParamPackIJNSU_6detail7ReducerINSX_IdddEEdSY_EEEEES7_SB_TnNSt9enable_ifIXaaaasr3std10is_base_ofINS5_15StridedLoopBaseET4_EE5valuesr3std10is_base_ofINS5_15UnsizedLoopBaseES19_EE5valuegtsrT5_10block_sizeLi0EEmE4typeELm256EEEvT1_T0_T2_T3_,@function
_ZN4RAJA6policy3hip4impl18forallp_hip_kernelINS1_8hip_execINS_17iteration_mapping11StridedLoopILm0EEENS_3hip11IndexGlobalILNS_9named_dimE0ELi256ELi0EEENS8_40AvoidDeviceMaxThreadOccupancyConcretizerINS8_34FractionOffsetOccupancyConcretizerINS_8FractionImLm1ELm1EEELln1EEEEELb1EEENS_9Iterators16numeric_iteratorIllPlEEZN8rajaperf5basic8TRAP_INT26runHipVariantRAJANewReduceILm256ENSN_11gpu_mapping40global_loop_occupancy_grid_stride_helperEEEvNSN_9VariantIDEEUllRNS_4expt5ValOpIdNS_9operators4plusEEEE_lNSU_15ForallParamPackIJNSU_6detail7ReducerINSX_IdddEEdSY_EEEEES7_SB_TnNSt9enable_ifIXaaaasr3std10is_base_ofINS5_15StridedLoopBaseET4_EE5valuesr3std10is_base_ofINS5_15UnsizedLoopBaseES19_EE5valuegtsrT5_10block_sizeLi0EEmE4typeELm256EEEvT1_T0_T2_T3_: ; @_ZN4RAJA6policy3hip4impl18forallp_hip_kernelINS1_8hip_execINS_17iteration_mapping11StridedLoopILm0EEENS_3hip11IndexGlobalILNS_9named_dimE0ELi256ELi0EEENS8_40AvoidDeviceMaxThreadOccupancyConcretizerINS8_34FractionOffsetOccupancyConcretizerINS_8FractionImLm1ELm1EEELln1EEEEELb1EEENS_9Iterators16numeric_iteratorIllPlEEZN8rajaperf5basic8TRAP_INT26runHipVariantRAJANewReduceILm256ENSN_11gpu_mapping40global_loop_occupancy_grid_stride_helperEEEvNSN_9VariantIDEEUllRNS_4expt5ValOpIdNS_9operators4plusEEEE_lNSU_15ForallParamPackIJNSU_6detail7ReducerINSX_IdddEEdSY_EEEEES7_SB_TnNSt9enable_ifIXaaaasr3std10is_base_ofINS5_15StridedLoopBaseET4_EE5valuesr3std10is_base_ofINS5_15UnsizedLoopBaseES19_EE5valuegtsrT5_10block_sizeLi0EEmE4typeELm256EEEvT1_T0_T2_T3_
; %bb.0:
	s_mov_b32 s7, 0
	s_load_dwordx4 s[0:3], s[4:5], 0x28
	s_load_dwordx2 s[26:27], s[4:5], 0x38
	s_load_dwordx4 s[16:19], s[4:5], 0x48
	s_load_dwordx2 s[20:21], s[4:5], 0x58
	s_lshl_b64 s[8:9], s[6:7], 8
	v_or_b32_e32 v5, s8, v0
	v_mov_b32_e32 v6, s9
	s_waitcnt lgkmcnt(0)
	v_cmp_le_i64_e32 vcc, s[2:3], v[5:6]
                                        ; implicit-def: $sgpr8_sgpr9
                                        ; implicit-def: $sgpr7
	s_and_saveexec_b64 s[10:11], vcc
	s_xor_b64 s[10:11], exec, s[10:11]
; %bb.1:
	s_load_dword s7, s[4:5], 0x60
	s_add_u32 s8, s4, 0x60
	s_addc_u32 s9, s5, 0
                                        ; implicit-def: $vgpr5_vgpr6
; %bb.2:
	s_or_saveexec_b64 s[22:23], s[10:11]
	v_mov_b32_e32 v7, s26
	v_mov_b32_e32 v3, s8
	;; [unrolled: 1-line block ×4, first 2 shown]
	s_waitcnt lgkmcnt(0)
	v_mov_b32_e32 v11, s7
	s_xor_b64 exec, exec, s[22:23]
	s_cbranch_execz .LBB6_6
; %bb.3:
	s_load_dwordx2 s[28:29], s[4:5], 0x20
	s_load_dwordx8 s[8:15], s[4:5], 0x0
	s_load_dword s24, s[4:5], 0x60
	s_add_u32 s4, s4, 0x60
	s_mov_b32 s25, 0
	s_waitcnt lgkmcnt(0)
	v_mov_b32_e32 v3, s28
	v_mov_b32_e32 v4, s29
	v_add_f64 v[3:4], s[12:13], -v[3:4]
	v_mov_b32_e32 v7, s26
	v_mov_b32_e32 v10, s9
	;; [unrolled: 1-line block ×3, first 2 shown]
	s_addc_u32 s5, s5, 0
	s_lshl_b64 s[26:27], s[24:25], 8
	v_mov_b32_e32 v9, s8
	s_mov_b32 s8, 0
	v_mul_f64 v[3:4], v[3:4], v[3:4]
	s_mov_b64 s[12:13], 0
	v_mov_b32_e32 v11, s1
	s_brev_b32 s9, 8
	v_mov_b32_e32 v12, 0x100
	v_mov_b32_e32 v13, 0xffffff80
	;; [unrolled: 1-line block ×4, first 2 shown]
.LBB6_4:                                ; =>This Inner Loop Header: Depth=1
	v_add_co_u32_e32 v18, vcc, s0, v5
	v_addc_co_u32_e32 v16, vcc, v11, v6, vcc
	v_cvt_f64_i32_e32 v[16:17], v16
	v_cvt_f64_u32_e32 v[18:19], v18
	v_ldexp_f64 v[16:17], v[16:17], 32
	v_add_f64 v[16:17], v[16:17], v[18:19]
	v_fma_f64 v[16:17], s[10:11], v[16:17], v[9:10]
	v_add_f64 v[16:17], v[16:17], -s[14:15]
	v_fma_f64 v[16:17], v[16:17], v[16:17], v[3:4]
	v_cmp_gt_f64_e32 vcc, s[8:9], v[16:17]
	v_cndmask_b32_e32 v18, 0, v12, vcc
	v_ldexp_f64 v[16:17], v[16:17], v18
	v_rsq_f64_e32 v[18:19], v[16:17]
	v_mul_f64 v[20:21], v[16:17], v[18:19]
	v_mul_f64 v[18:19], v[18:19], 0.5
	v_fma_f64 v[22:23], -v[18:19], v[20:21], 0.5
	v_fma_f64 v[20:21], v[20:21], v[22:23], v[20:21]
	v_fma_f64 v[18:19], v[18:19], v[22:23], v[18:19]
	v_fma_f64 v[22:23], -v[20:21], v[20:21], v[16:17]
	v_fma_f64 v[20:21], v[22:23], v[18:19], v[20:21]
	v_fma_f64 v[22:23], -v[20:21], v[20:21], v[16:17]
	v_fma_f64 v[18:19], v[22:23], v[18:19], v[20:21]
	v_cndmask_b32_e32 v20, 0, v13, vcc
	v_cmp_class_f64_e32 vcc, v[16:17], v14
	v_ldexp_f64 v[18:19], v[18:19], v20
	v_cndmask_b32_e32 v17, v19, v17, vcc
	v_cndmask_b32_e32 v16, v18, v16, vcc
	v_div_scale_f64 v[18:19], s[28:29], v[16:17], v[16:17], 1.0
	v_rcp_f64_e32 v[20:21], v[18:19]
	v_fma_f64 v[22:23], -v[18:19], v[20:21], 1.0
	v_fma_f64 v[20:21], v[20:21], v[22:23], v[20:21]
	v_div_scale_f64 v[22:23], vcc, 1.0, v[16:17], 1.0
	v_fma_f64 v[24:25], -v[18:19], v[20:21], 1.0
	v_fma_f64 v[20:21], v[20:21], v[24:25], v[20:21]
	v_mul_f64 v[24:25], v[22:23], v[20:21]
	v_fma_f64 v[18:19], -v[18:19], v[24:25], v[22:23]
	v_div_fmas_f64 v[18:19], v[18:19], v[20:21], v[24:25]
	v_add_co_u32_e32 v5, vcc, s26, v5
	v_addc_co_u32_e32 v6, vcc, v6, v15, vcc
	v_cmp_le_i64_e32 vcc, s[2:3], v[5:6]
	s_or_b64 s[12:13], vcc, s[12:13]
	v_div_fixup_f64 v[16:17], v[18:19], v[16:17], 1.0
	v_add_f64 v[7:8], v[7:8], v[16:17]
	s_andn2_b64 exec, exec, s[12:13]
	s_cbranch_execnz .LBB6_4
; %bb.5:
	s_or_b64 exec, exec, s[12:13]
	v_mov_b32_e32 v3, s4
	v_mov_b32_e32 v4, s5
	v_mov_b32_e32 v11, s24
.LBB6_6:
	s_or_b64 exec, exec, s[22:23]
	v_mbcnt_lo_u32_b32 v5, -1, 0
	v_mbcnt_hi_u32_b32 v15, -1, v5
	v_and_b32_e32 v5, 64, v15
	v_add_u32_e32 v14, 64, v5
	v_xor_b32_e32 v5, 1, v15
	v_cmp_lt_i32_e32 vcc, v5, v14
	v_cndmask_b32_e32 v5, v15, v5, vcc
	v_lshlrev_b32_e32 v9, 2, v5
	ds_bpermute_b32 v5, v9, v7
	ds_bpermute_b32 v6, v9, v8
	v_xor_b32_e32 v10, 8, v15
	s_waitcnt lgkmcnt(0)
	v_add_f64 v[5:6], v[7:8], v[5:6]
	v_xor_b32_e32 v7, 2, v15
	v_cmp_lt_i32_e32 vcc, v7, v14
	v_cndmask_b32_e32 v7, v15, v7, vcc
	v_lshlrev_b32_e32 v7, 2, v7
	v_xor_b32_e32 v8, 4, v15
	v_cmp_lt_i32_e32 vcc, v8, v14
	v_cndmask_b32_e32 v8, v15, v8, vcc
	ds_bpermute_b32 v12, v7, v5
	ds_bpermute_b32 v13, v7, v6
	v_lshlrev_b32_e32 v8, 2, v8
	v_cmp_lt_i32_e32 vcc, v10, v14
	v_cndmask_b32_e32 v10, v15, v10, vcc
	v_lshlrev_b32_e32 v10, 2, v10
	s_waitcnt lgkmcnt(0)
	v_add_f64 v[5:6], v[5:6], v[12:13]
	ds_bpermute_b32 v12, v8, v5
	ds_bpermute_b32 v13, v8, v6
	s_waitcnt lgkmcnt(0)
	v_add_f64 v[5:6], v[5:6], v[12:13]
	ds_bpermute_b32 v12, v10, v5
	ds_bpermute_b32 v13, v10, v6
	s_waitcnt lgkmcnt(0)
	v_add_f64 v[5:6], v[5:6], v[12:13]
	v_xor_b32_e32 v12, 16, v15
	v_cmp_lt_i32_e32 vcc, v12, v14
	v_cndmask_b32_e32 v12, v15, v12, vcc
	v_lshlrev_b32_e32 v13, 2, v12
	v_xor_b32_e32 v12, 32, v15
	v_cmp_lt_i32_e32 vcc, v12, v14
	v_cndmask_b32_e32 v12, v15, v12, vcc
	ds_bpermute_b32 v16, v13, v5
	ds_bpermute_b32 v17, v13, v6
	v_lshlrev_b32_e32 v14, 2, v12
	v_and_b32_e32 v12, 63, v0
	v_cmp_eq_u32_e64 s[0:1], 0, v12
	s_waitcnt lgkmcnt(0)
	v_add_f64 v[5:6], v[5:6], v[16:17]
	ds_bpermute_b32 v16, v14, v5
	ds_bpermute_b32 v17, v14, v6
	s_waitcnt lgkmcnt(0)
	v_add_f64 v[5:6], v[5:6], v[16:17]
	s_and_saveexec_b64 s[2:3], s[0:1]
; %bb.7:
	v_lshrrev_b32_e32 v16, 3, v0
	ds_write_b64 v16, v[5:6] offset:256
; %bb.8:
	s_or_b64 exec, exec, s[2:3]
	v_cmp_gt_u32_e64 s[2:3], 64, v0
	s_waitcnt lgkmcnt(0)
	s_barrier
	s_and_saveexec_b64 s[4:5], s[2:3]
	s_cbranch_execz .LBB6_12
; %bb.9:
	v_mov_b32_e32 v5, 0
	v_mov_b32_e32 v6, 0
	v_cmp_gt_u32_e32 vcc, 4, v12
	s_and_saveexec_b64 s[8:9], vcc
; %bb.10:
	v_lshlrev_b32_e32 v5, 3, v12
	ds_read_b64 v[5:6], v5 offset:256
; %bb.11:
	s_or_b64 exec, exec, s[8:9]
	s_waitcnt lgkmcnt(0)
	ds_bpermute_b32 v16, v9, v5
	ds_bpermute_b32 v17, v9, v6
	s_waitcnt lgkmcnt(0)
	v_add_f64 v[5:6], v[5:6], v[16:17]
	ds_bpermute_b32 v16, v7, v5
	ds_bpermute_b32 v17, v7, v6
	s_waitcnt lgkmcnt(0)
	v_add_f64 v[5:6], v[5:6], v[16:17]
	;; [unrolled: 4-line block ×4, first 2 shown]
.LBB6_12:
	s_or_b64 exec, exec, s[4:5]
	v_mov_b32_e32 v16, 0
	v_cmp_eq_u32_e64 s[4:5], 0, v0
	s_barrier
	s_and_saveexec_b64 s[8:9], s[4:5]
	s_cbranch_execz .LBB6_14
; %bb.13:
	s_ashr_i32 s7, s6, 31
	s_lshl_b64 s[10:11], s[6:7], 3
	s_add_u32 s10, s18, s10
	v_mov_b32_e32 v16, 0
	v_add_u32_e32 v17, -1, v11
	s_addc_u32 s11, s19, s11
	global_store_dwordx2 v16, v[5:6], s[10:11]
	s_waitcnt vmcnt(0)
	buffer_wbinvl1_vol
	global_atomic_inc v5, v16, v17, s[20:21] glc
	s_waitcnt vmcnt(0)
	v_cmp_eq_u32_e32 vcc, v5, v17
	v_cndmask_b32_e64 v16, 0, 1, vcc
.LBB6_14:
	s_or_b64 exec, exec, s[8:9]
	v_cmp_lt_u32_e32 vcc, s6, v11
	v_cndmask_b32_e64 v6, 18, 12, vcc
	global_load_dword v5, v[3:4], off offset:14
	v_add_co_u32_e32 v3, vcc, v3, v6
	v_addc_co_u32_e32 v4, vcc, 0, v4, vcc
	global_load_ushort v3, v[3:4], off
	s_nop 0
	v_or_b32_dpp v4, v16, v16 row_shl:1 row_mask:0xf bank_mask:0xf bound_ctrl:1
	s_bitcmp1_b32 exec_hi, 0
	s_nop 0
	v_or_b32_dpp v4, v4, v4 row_shl:2 row_mask:0xf bank_mask:0xf bound_ctrl:1
	s_nop 1
	v_or_b32_dpp v4, v4, v4 row_shl:4 row_mask:0xf bank_mask:0xf bound_ctrl:1
	;; [unrolled: 2-line block ×3, first 2 shown]
	s_nop 1
	v_mov_b32_dpp v6, v4 wave_shl:1 row_mask:0xf bank_mask:0xf bound_ctrl:1
	s_nop 1
	v_or_b32_dpp v4, v6, v4 row_mirror row_mask:0xf bank_mask:0xf bound_ctrl:1
	v_readlane_b32 s6, v4, 32
	v_readlane_b32 s7, v4, 0
	s_cselect_b32 s6, s6, 0
	s_or_b32 s10, s6, s7
	s_waitcnt vmcnt(1)
	v_lshrrev_b32_e32 v4, 16, v5
	v_and_b32_e32 v5, 0xffff, v5
	v_lshlrev_b32_e32 v6, 8, v5
	s_waitcnt vmcnt(0)
	v_mul_u32_u24_e32 v6, v6, v3
	v_lshrrev_b32_e32 v6, 8, v6
	v_mad_i32_i24 v4, v6, v4, 63
	v_and_b32_e32 v4, 0xffffffc0, v4
	v_cmp_ne_u32_e32 vcc, 64, v4
	v_mov_b32_e32 v4, s10
	s_and_saveexec_b64 s[8:9], vcc
	s_cbranch_execz .LBB6_21
; %bb.15:
	v_mad_u32_u24 v1, v2, v5, v1
	v_mad_u64_u32 v[1:2], s[6:7], v1, v3, v[0:1]
	v_lshrrev_b32_e32 v2, 6, v1
	v_or_b32_e32 v2, v2, v15
	v_cmp_eq_u32_e32 vcc, 0, v2
	s_and_saveexec_b64 s[6:7], vcc
; %bb.16:
	v_mov_b32_e32 v2, 0
	v_mov_b32_e32 v3, s10
	ds_write_b32 v2, v3
; %bb.17:
	s_or_b64 exec, exec, s[6:7]
	v_cmp_eq_u32_e32 vcc, 0, v15
	v_cmp_lt_u32_e64 s[6:7], 63, v1
	s_and_b64 s[12:13], vcc, s[6:7]
	s_waitcnt lgkmcnt(0)
	s_barrier
	s_and_saveexec_b64 s[6:7], s[12:13]
	s_cbranch_execz .LBB6_20
; %bb.18:
	v_mbcnt_lo_u32_b32 v1, exec_lo, 0
	v_mbcnt_hi_u32_b32 v1, exec_hi, v1
	v_cmp_eq_u32_e32 vcc, 0, v1
	s_and_b64 exec, exec, vcc
; %bb.19:
	v_mov_b32_e32 v1, 0
	v_mov_b32_e32 v2, s10
	ds_or_b32 v1, v2
.LBB6_20:
	s_or_b64 exec, exec, s[6:7]
	v_mov_b32_e32 v1, 0
	s_waitcnt lgkmcnt(0)
	s_barrier
	ds_read_b32 v4, v1
	s_waitcnt lgkmcnt(0)
	s_barrier
.LBB6_21:
	s_or_b64 exec, exec, s[8:9]
	v_cmp_ne_u32_e32 vcc, 0, v4
	s_and_saveexec_b64 s[6:7], vcc
	s_cbranch_execz .LBB6_34
; %bb.22:
	v_mov_b32_e32 v1, 0
	v_mov_b32_e32 v2, 0
	v_cmp_lt_i32_e32 vcc, v0, v11
	buffer_wbinvl1_vol
	s_and_saveexec_b64 s[8:9], vcc
	s_cbranch_execz .LBB6_26
; %bb.23:
	v_lshlrev_b32_e32 v1, 3, v0
	v_mov_b32_e32 v2, s19
	v_add_co_u32_e32 v3, vcc, s18, v1
	v_addc_co_u32_e32 v4, vcc, 0, v2, vcc
	v_mov_b32_e32 v1, 0
	v_mov_b32_e32 v2, 0
	s_mov_b64 s[10:11], 0
	v_mov_b32_e32 v5, v0
.LBB6_24:                               ; =>This Inner Loop Header: Depth=1
	global_load_dwordx2 v[15:16], v[3:4], off
	v_add_u32_e32 v5, 0x100, v5
	v_add_co_u32_e32 v3, vcc, 0x800, v3
	v_cmp_ge_i32_e64 s[6:7], v5, v11
	s_or_b64 s[10:11], s[6:7], s[10:11]
	v_addc_co_u32_e32 v4, vcc, 0, v4, vcc
	s_waitcnt vmcnt(0)
	v_add_f64 v[1:2], v[1:2], v[15:16]
	s_andn2_b64 exec, exec, s[10:11]
	s_cbranch_execnz .LBB6_24
; %bb.25:
	s_or_b64 exec, exec, s[10:11]
.LBB6_26:
	s_or_b64 exec, exec, s[8:9]
	ds_bpermute_b32 v3, v9, v1
	ds_bpermute_b32 v4, v9, v2
	s_waitcnt lgkmcnt(0)
	v_add_f64 v[1:2], v[1:2], v[3:4]
	ds_bpermute_b32 v3, v7, v1
	ds_bpermute_b32 v4, v7, v2
	s_waitcnt lgkmcnt(0)
	v_add_f64 v[1:2], v[1:2], v[3:4]
	;; [unrolled: 4-line block ×6, first 2 shown]
	s_and_saveexec_b64 s[6:7], s[0:1]
; %bb.27:
	v_lshrrev_b32_e32 v0, 3, v0
	ds_write_b64 v0, v[1:2] offset:256
; %bb.28:
	s_or_b64 exec, exec, s[6:7]
	s_waitcnt lgkmcnt(0)
	s_barrier
	s_and_saveexec_b64 s[0:1], s[2:3]
	s_cbranch_execz .LBB6_32
; %bb.29:
	v_mov_b32_e32 v0, 0
	v_mov_b32_e32 v1, 0
	v_cmp_gt_u32_e32 vcc, 4, v12
	s_and_saveexec_b64 s[2:3], vcc
; %bb.30:
	v_lshlrev_b32_e32 v0, 3, v12
	ds_read_b64 v[0:1], v0 offset:256
; %bb.31:
	s_or_b64 exec, exec, s[2:3]
	s_waitcnt lgkmcnt(0)
	ds_bpermute_b32 v2, v9, v0
	ds_bpermute_b32 v3, v9, v1
	s_waitcnt lgkmcnt(0)
	v_add_f64 v[0:1], v[0:1], v[2:3]
	ds_bpermute_b32 v2, v7, v0
	ds_bpermute_b32 v3, v7, v1
	s_waitcnt lgkmcnt(0)
	v_add_f64 v[0:1], v[0:1], v[2:3]
	;; [unrolled: 4-line block ×4, first 2 shown]
.LBB6_32:
	s_or_b64 exec, exec, s[0:1]
	s_barrier
	s_and_b64 exec, exec, s[4:5]
	s_cbranch_execz .LBB6_34
; %bb.33:
	v_mov_b32_e32 v0, 0
	global_store_dwordx2 v0, v[1:2], s[16:17]
.LBB6_34:
	s_endpgm
	.section	.rodata,"a",@progbits
	.p2align	6, 0x0
	.amdhsa_kernel _ZN4RAJA6policy3hip4impl18forallp_hip_kernelINS1_8hip_execINS_17iteration_mapping11StridedLoopILm0EEENS_3hip11IndexGlobalILNS_9named_dimE0ELi256ELi0EEENS8_40AvoidDeviceMaxThreadOccupancyConcretizerINS8_34FractionOffsetOccupancyConcretizerINS_8FractionImLm1ELm1EEELln1EEEEELb1EEENS_9Iterators16numeric_iteratorIllPlEEZN8rajaperf5basic8TRAP_INT26runHipVariantRAJANewReduceILm256ENSN_11gpu_mapping40global_loop_occupancy_grid_stride_helperEEEvNSN_9VariantIDEEUllRNS_4expt5ValOpIdNS_9operators4plusEEEE_lNSU_15ForallParamPackIJNSU_6detail7ReducerINSX_IdddEEdSY_EEEEES7_SB_TnNSt9enable_ifIXaaaasr3std10is_base_ofINS5_15StridedLoopBaseET4_EE5valuesr3std10is_base_ofINS5_15UnsizedLoopBaseES19_EE5valuegtsrT5_10block_sizeLi0EEmE4typeELm256EEEvT1_T0_T2_T3_
		.amdhsa_group_segment_fixed_size 384
		.amdhsa_private_segment_fixed_size 0
		.amdhsa_kernarg_size 352
		.amdhsa_user_sgpr_count 6
		.amdhsa_user_sgpr_private_segment_buffer 1
		.amdhsa_user_sgpr_dispatch_ptr 0
		.amdhsa_user_sgpr_queue_ptr 0
		.amdhsa_user_sgpr_kernarg_segment_ptr 1
		.amdhsa_user_sgpr_dispatch_id 0
		.amdhsa_user_sgpr_flat_scratch_init 0
		.amdhsa_user_sgpr_private_segment_size 0
		.amdhsa_uses_dynamic_stack 0
		.amdhsa_system_sgpr_private_segment_wavefront_offset 0
		.amdhsa_system_sgpr_workgroup_id_x 1
		.amdhsa_system_sgpr_workgroup_id_y 0
		.amdhsa_system_sgpr_workgroup_id_z 0
		.amdhsa_system_sgpr_workgroup_info 0
		.amdhsa_system_vgpr_workitem_id 2
		.amdhsa_next_free_vgpr 26
		.amdhsa_next_free_sgpr 30
		.amdhsa_reserve_vcc 1
		.amdhsa_reserve_flat_scratch 0
		.amdhsa_float_round_mode_32 0
		.amdhsa_float_round_mode_16_64 0
		.amdhsa_float_denorm_mode_32 3
		.amdhsa_float_denorm_mode_16_64 3
		.amdhsa_dx10_clamp 1
		.amdhsa_ieee_mode 1
		.amdhsa_fp16_overflow 0
		.amdhsa_exception_fp_ieee_invalid_op 0
		.amdhsa_exception_fp_denorm_src 0
		.amdhsa_exception_fp_ieee_div_zero 0
		.amdhsa_exception_fp_ieee_overflow 0
		.amdhsa_exception_fp_ieee_underflow 0
		.amdhsa_exception_fp_ieee_inexact 0
		.amdhsa_exception_int_div_zero 0
	.end_amdhsa_kernel
	.section	.text._ZN4RAJA6policy3hip4impl18forallp_hip_kernelINS1_8hip_execINS_17iteration_mapping11StridedLoopILm0EEENS_3hip11IndexGlobalILNS_9named_dimE0ELi256ELi0EEENS8_40AvoidDeviceMaxThreadOccupancyConcretizerINS8_34FractionOffsetOccupancyConcretizerINS_8FractionImLm1ELm1EEELln1EEEEELb1EEENS_9Iterators16numeric_iteratorIllPlEEZN8rajaperf5basic8TRAP_INT26runHipVariantRAJANewReduceILm256ENSN_11gpu_mapping40global_loop_occupancy_grid_stride_helperEEEvNSN_9VariantIDEEUllRNS_4expt5ValOpIdNS_9operators4plusEEEE_lNSU_15ForallParamPackIJNSU_6detail7ReducerINSX_IdddEEdSY_EEEEES7_SB_TnNSt9enable_ifIXaaaasr3std10is_base_ofINS5_15StridedLoopBaseET4_EE5valuesr3std10is_base_ofINS5_15UnsizedLoopBaseES19_EE5valuegtsrT5_10block_sizeLi0EEmE4typeELm256EEEvT1_T0_T2_T3_,"axG",@progbits,_ZN4RAJA6policy3hip4impl18forallp_hip_kernelINS1_8hip_execINS_17iteration_mapping11StridedLoopILm0EEENS_3hip11IndexGlobalILNS_9named_dimE0ELi256ELi0EEENS8_40AvoidDeviceMaxThreadOccupancyConcretizerINS8_34FractionOffsetOccupancyConcretizerINS_8FractionImLm1ELm1EEELln1EEEEELb1EEENS_9Iterators16numeric_iteratorIllPlEEZN8rajaperf5basic8TRAP_INT26runHipVariantRAJANewReduceILm256ENSN_11gpu_mapping40global_loop_occupancy_grid_stride_helperEEEvNSN_9VariantIDEEUllRNS_4expt5ValOpIdNS_9operators4plusEEEE_lNSU_15ForallParamPackIJNSU_6detail7ReducerINSX_IdddEEdSY_EEEEES7_SB_TnNSt9enable_ifIXaaaasr3std10is_base_ofINS5_15StridedLoopBaseET4_EE5valuesr3std10is_base_ofINS5_15UnsizedLoopBaseES19_EE5valuegtsrT5_10block_sizeLi0EEmE4typeELm256EEEvT1_T0_T2_T3_,comdat
.Lfunc_end6:
	.size	_ZN4RAJA6policy3hip4impl18forallp_hip_kernelINS1_8hip_execINS_17iteration_mapping11StridedLoopILm0EEENS_3hip11IndexGlobalILNS_9named_dimE0ELi256ELi0EEENS8_40AvoidDeviceMaxThreadOccupancyConcretizerINS8_34FractionOffsetOccupancyConcretizerINS_8FractionImLm1ELm1EEELln1EEEEELb1EEENS_9Iterators16numeric_iteratorIllPlEEZN8rajaperf5basic8TRAP_INT26runHipVariantRAJANewReduceILm256ENSN_11gpu_mapping40global_loop_occupancy_grid_stride_helperEEEvNSN_9VariantIDEEUllRNS_4expt5ValOpIdNS_9operators4plusEEEE_lNSU_15ForallParamPackIJNSU_6detail7ReducerINSX_IdddEEdSY_EEEEES7_SB_TnNSt9enable_ifIXaaaasr3std10is_base_ofINS5_15StridedLoopBaseET4_EE5valuesr3std10is_base_ofINS5_15UnsizedLoopBaseES19_EE5valuegtsrT5_10block_sizeLi0EEmE4typeELm256EEEvT1_T0_T2_T3_, .Lfunc_end6-_ZN4RAJA6policy3hip4impl18forallp_hip_kernelINS1_8hip_execINS_17iteration_mapping11StridedLoopILm0EEENS_3hip11IndexGlobalILNS_9named_dimE0ELi256ELi0EEENS8_40AvoidDeviceMaxThreadOccupancyConcretizerINS8_34FractionOffsetOccupancyConcretizerINS_8FractionImLm1ELm1EEELln1EEEEELb1EEENS_9Iterators16numeric_iteratorIllPlEEZN8rajaperf5basic8TRAP_INT26runHipVariantRAJANewReduceILm256ENSN_11gpu_mapping40global_loop_occupancy_grid_stride_helperEEEvNSN_9VariantIDEEUllRNS_4expt5ValOpIdNS_9operators4plusEEEE_lNSU_15ForallParamPackIJNSU_6detail7ReducerINSX_IdddEEdSY_EEEEES7_SB_TnNSt9enable_ifIXaaaasr3std10is_base_ofINS5_15StridedLoopBaseET4_EE5valuesr3std10is_base_ofINS5_15UnsizedLoopBaseES19_EE5valuegtsrT5_10block_sizeLi0EEmE4typeELm256EEEvT1_T0_T2_T3_
                                        ; -- End function
	.set _ZN4RAJA6policy3hip4impl18forallp_hip_kernelINS1_8hip_execINS_17iteration_mapping11StridedLoopILm0EEENS_3hip11IndexGlobalILNS_9named_dimE0ELi256ELi0EEENS8_40AvoidDeviceMaxThreadOccupancyConcretizerINS8_34FractionOffsetOccupancyConcretizerINS_8FractionImLm1ELm1EEELln1EEEEELb1EEENS_9Iterators16numeric_iteratorIllPlEEZN8rajaperf5basic8TRAP_INT26runHipVariantRAJANewReduceILm256ENSN_11gpu_mapping40global_loop_occupancy_grid_stride_helperEEEvNSN_9VariantIDEEUllRNS_4expt5ValOpIdNS_9operators4plusEEEE_lNSU_15ForallParamPackIJNSU_6detail7ReducerINSX_IdddEEdSY_EEEEES7_SB_TnNSt9enable_ifIXaaaasr3std10is_base_ofINS5_15StridedLoopBaseET4_EE5valuesr3std10is_base_ofINS5_15UnsizedLoopBaseES19_EE5valuegtsrT5_10block_sizeLi0EEmE4typeELm256EEEvT1_T0_T2_T3_.num_vgpr, 26
	.set _ZN4RAJA6policy3hip4impl18forallp_hip_kernelINS1_8hip_execINS_17iteration_mapping11StridedLoopILm0EEENS_3hip11IndexGlobalILNS_9named_dimE0ELi256ELi0EEENS8_40AvoidDeviceMaxThreadOccupancyConcretizerINS8_34FractionOffsetOccupancyConcretizerINS_8FractionImLm1ELm1EEELln1EEEEELb1EEENS_9Iterators16numeric_iteratorIllPlEEZN8rajaperf5basic8TRAP_INT26runHipVariantRAJANewReduceILm256ENSN_11gpu_mapping40global_loop_occupancy_grid_stride_helperEEEvNSN_9VariantIDEEUllRNS_4expt5ValOpIdNS_9operators4plusEEEE_lNSU_15ForallParamPackIJNSU_6detail7ReducerINSX_IdddEEdSY_EEEEES7_SB_TnNSt9enable_ifIXaaaasr3std10is_base_ofINS5_15StridedLoopBaseET4_EE5valuesr3std10is_base_ofINS5_15UnsizedLoopBaseES19_EE5valuegtsrT5_10block_sizeLi0EEmE4typeELm256EEEvT1_T0_T2_T3_.num_agpr, 0
	.set _ZN4RAJA6policy3hip4impl18forallp_hip_kernelINS1_8hip_execINS_17iteration_mapping11StridedLoopILm0EEENS_3hip11IndexGlobalILNS_9named_dimE0ELi256ELi0EEENS8_40AvoidDeviceMaxThreadOccupancyConcretizerINS8_34FractionOffsetOccupancyConcretizerINS_8FractionImLm1ELm1EEELln1EEEEELb1EEENS_9Iterators16numeric_iteratorIllPlEEZN8rajaperf5basic8TRAP_INT26runHipVariantRAJANewReduceILm256ENSN_11gpu_mapping40global_loop_occupancy_grid_stride_helperEEEvNSN_9VariantIDEEUllRNS_4expt5ValOpIdNS_9operators4plusEEEE_lNSU_15ForallParamPackIJNSU_6detail7ReducerINSX_IdddEEdSY_EEEEES7_SB_TnNSt9enable_ifIXaaaasr3std10is_base_ofINS5_15StridedLoopBaseET4_EE5valuesr3std10is_base_ofINS5_15UnsizedLoopBaseES19_EE5valuegtsrT5_10block_sizeLi0EEmE4typeELm256EEEvT1_T0_T2_T3_.numbered_sgpr, 30
	.set _ZN4RAJA6policy3hip4impl18forallp_hip_kernelINS1_8hip_execINS_17iteration_mapping11StridedLoopILm0EEENS_3hip11IndexGlobalILNS_9named_dimE0ELi256ELi0EEENS8_40AvoidDeviceMaxThreadOccupancyConcretizerINS8_34FractionOffsetOccupancyConcretizerINS_8FractionImLm1ELm1EEELln1EEEEELb1EEENS_9Iterators16numeric_iteratorIllPlEEZN8rajaperf5basic8TRAP_INT26runHipVariantRAJANewReduceILm256ENSN_11gpu_mapping40global_loop_occupancy_grid_stride_helperEEEvNSN_9VariantIDEEUllRNS_4expt5ValOpIdNS_9operators4plusEEEE_lNSU_15ForallParamPackIJNSU_6detail7ReducerINSX_IdddEEdSY_EEEEES7_SB_TnNSt9enable_ifIXaaaasr3std10is_base_ofINS5_15StridedLoopBaseET4_EE5valuesr3std10is_base_ofINS5_15UnsizedLoopBaseES19_EE5valuegtsrT5_10block_sizeLi0EEmE4typeELm256EEEvT1_T0_T2_T3_.num_named_barrier, 0
	.set _ZN4RAJA6policy3hip4impl18forallp_hip_kernelINS1_8hip_execINS_17iteration_mapping11StridedLoopILm0EEENS_3hip11IndexGlobalILNS_9named_dimE0ELi256ELi0EEENS8_40AvoidDeviceMaxThreadOccupancyConcretizerINS8_34FractionOffsetOccupancyConcretizerINS_8FractionImLm1ELm1EEELln1EEEEELb1EEENS_9Iterators16numeric_iteratorIllPlEEZN8rajaperf5basic8TRAP_INT26runHipVariantRAJANewReduceILm256ENSN_11gpu_mapping40global_loop_occupancy_grid_stride_helperEEEvNSN_9VariantIDEEUllRNS_4expt5ValOpIdNS_9operators4plusEEEE_lNSU_15ForallParamPackIJNSU_6detail7ReducerINSX_IdddEEdSY_EEEEES7_SB_TnNSt9enable_ifIXaaaasr3std10is_base_ofINS5_15StridedLoopBaseET4_EE5valuesr3std10is_base_ofINS5_15UnsizedLoopBaseES19_EE5valuegtsrT5_10block_sizeLi0EEmE4typeELm256EEEvT1_T0_T2_T3_.private_seg_size, 0
	.set _ZN4RAJA6policy3hip4impl18forallp_hip_kernelINS1_8hip_execINS_17iteration_mapping11StridedLoopILm0EEENS_3hip11IndexGlobalILNS_9named_dimE0ELi256ELi0EEENS8_40AvoidDeviceMaxThreadOccupancyConcretizerINS8_34FractionOffsetOccupancyConcretizerINS_8FractionImLm1ELm1EEELln1EEEEELb1EEENS_9Iterators16numeric_iteratorIllPlEEZN8rajaperf5basic8TRAP_INT26runHipVariantRAJANewReduceILm256ENSN_11gpu_mapping40global_loop_occupancy_grid_stride_helperEEEvNSN_9VariantIDEEUllRNS_4expt5ValOpIdNS_9operators4plusEEEE_lNSU_15ForallParamPackIJNSU_6detail7ReducerINSX_IdddEEdSY_EEEEES7_SB_TnNSt9enable_ifIXaaaasr3std10is_base_ofINS5_15StridedLoopBaseET4_EE5valuesr3std10is_base_ofINS5_15UnsizedLoopBaseES19_EE5valuegtsrT5_10block_sizeLi0EEmE4typeELm256EEEvT1_T0_T2_T3_.uses_vcc, 1
	.set _ZN4RAJA6policy3hip4impl18forallp_hip_kernelINS1_8hip_execINS_17iteration_mapping11StridedLoopILm0EEENS_3hip11IndexGlobalILNS_9named_dimE0ELi256ELi0EEENS8_40AvoidDeviceMaxThreadOccupancyConcretizerINS8_34FractionOffsetOccupancyConcretizerINS_8FractionImLm1ELm1EEELln1EEEEELb1EEENS_9Iterators16numeric_iteratorIllPlEEZN8rajaperf5basic8TRAP_INT26runHipVariantRAJANewReduceILm256ENSN_11gpu_mapping40global_loop_occupancy_grid_stride_helperEEEvNSN_9VariantIDEEUllRNS_4expt5ValOpIdNS_9operators4plusEEEE_lNSU_15ForallParamPackIJNSU_6detail7ReducerINSX_IdddEEdSY_EEEEES7_SB_TnNSt9enable_ifIXaaaasr3std10is_base_ofINS5_15StridedLoopBaseET4_EE5valuesr3std10is_base_ofINS5_15UnsizedLoopBaseES19_EE5valuegtsrT5_10block_sizeLi0EEmE4typeELm256EEEvT1_T0_T2_T3_.uses_flat_scratch, 0
	.set _ZN4RAJA6policy3hip4impl18forallp_hip_kernelINS1_8hip_execINS_17iteration_mapping11StridedLoopILm0EEENS_3hip11IndexGlobalILNS_9named_dimE0ELi256ELi0EEENS8_40AvoidDeviceMaxThreadOccupancyConcretizerINS8_34FractionOffsetOccupancyConcretizerINS_8FractionImLm1ELm1EEELln1EEEEELb1EEENS_9Iterators16numeric_iteratorIllPlEEZN8rajaperf5basic8TRAP_INT26runHipVariantRAJANewReduceILm256ENSN_11gpu_mapping40global_loop_occupancy_grid_stride_helperEEEvNSN_9VariantIDEEUllRNS_4expt5ValOpIdNS_9operators4plusEEEE_lNSU_15ForallParamPackIJNSU_6detail7ReducerINSX_IdddEEdSY_EEEEES7_SB_TnNSt9enable_ifIXaaaasr3std10is_base_ofINS5_15StridedLoopBaseET4_EE5valuesr3std10is_base_ofINS5_15UnsizedLoopBaseES19_EE5valuegtsrT5_10block_sizeLi0EEmE4typeELm256EEEvT1_T0_T2_T3_.has_dyn_sized_stack, 0
	.set _ZN4RAJA6policy3hip4impl18forallp_hip_kernelINS1_8hip_execINS_17iteration_mapping11StridedLoopILm0EEENS_3hip11IndexGlobalILNS_9named_dimE0ELi256ELi0EEENS8_40AvoidDeviceMaxThreadOccupancyConcretizerINS8_34FractionOffsetOccupancyConcretizerINS_8FractionImLm1ELm1EEELln1EEEEELb1EEENS_9Iterators16numeric_iteratorIllPlEEZN8rajaperf5basic8TRAP_INT26runHipVariantRAJANewReduceILm256ENSN_11gpu_mapping40global_loop_occupancy_grid_stride_helperEEEvNSN_9VariantIDEEUllRNS_4expt5ValOpIdNS_9operators4plusEEEE_lNSU_15ForallParamPackIJNSU_6detail7ReducerINSX_IdddEEdSY_EEEEES7_SB_TnNSt9enable_ifIXaaaasr3std10is_base_ofINS5_15StridedLoopBaseET4_EE5valuesr3std10is_base_ofINS5_15UnsizedLoopBaseES19_EE5valuegtsrT5_10block_sizeLi0EEmE4typeELm256EEEvT1_T0_T2_T3_.has_recursion, 0
	.set _ZN4RAJA6policy3hip4impl18forallp_hip_kernelINS1_8hip_execINS_17iteration_mapping11StridedLoopILm0EEENS_3hip11IndexGlobalILNS_9named_dimE0ELi256ELi0EEENS8_40AvoidDeviceMaxThreadOccupancyConcretizerINS8_34FractionOffsetOccupancyConcretizerINS_8FractionImLm1ELm1EEELln1EEEEELb1EEENS_9Iterators16numeric_iteratorIllPlEEZN8rajaperf5basic8TRAP_INT26runHipVariantRAJANewReduceILm256ENSN_11gpu_mapping40global_loop_occupancy_grid_stride_helperEEEvNSN_9VariantIDEEUllRNS_4expt5ValOpIdNS_9operators4plusEEEE_lNSU_15ForallParamPackIJNSU_6detail7ReducerINSX_IdddEEdSY_EEEEES7_SB_TnNSt9enable_ifIXaaaasr3std10is_base_ofINS5_15StridedLoopBaseET4_EE5valuesr3std10is_base_ofINS5_15UnsizedLoopBaseES19_EE5valuegtsrT5_10block_sizeLi0EEmE4typeELm256EEEvT1_T0_T2_T3_.has_indirect_call, 0
	.section	.AMDGPU.csdata,"",@progbits
; Kernel info:
; codeLenInByte = 2036
; TotalNumSgprs: 34
; NumVgprs: 26
; ScratchSize: 0
; MemoryBound: 0
; FloatMode: 240
; IeeeMode: 1
; LDSByteSize: 384 bytes/workgroup (compile time only)
; SGPRBlocks: 4
; VGPRBlocks: 6
; NumSGPRsForWavesPerEU: 34
; NumVGPRsForWavesPerEU: 26
; Occupancy: 9
; WaveLimiterHint : 0
; COMPUTE_PGM_RSRC2:SCRATCH_EN: 0
; COMPUTE_PGM_RSRC2:USER_SGPR: 6
; COMPUTE_PGM_RSRC2:TRAP_HANDLER: 0
; COMPUTE_PGM_RSRC2:TGID_X_EN: 1
; COMPUTE_PGM_RSRC2:TGID_Y_EN: 0
; COMPUTE_PGM_RSRC2:TGID_Z_EN: 0
; COMPUTE_PGM_RSRC2:TIDIG_COMP_CNT: 2
	.section	.AMDGPU.gpr_maximums,"",@progbits
	.set amdgpu.max_num_vgpr, 0
	.set amdgpu.max_num_agpr, 0
	.set amdgpu.max_num_sgpr, 0
	.section	.AMDGPU.csdata,"",@progbits
	.type	__hip_cuid_9afa31aef2f08641,@object ; @__hip_cuid_9afa31aef2f08641
	.section	.bss,"aw",@nobits
	.globl	__hip_cuid_9afa31aef2f08641
__hip_cuid_9afa31aef2f08641:
	.byte	0                               ; 0x0
	.size	__hip_cuid_9afa31aef2f08641, 1

	.ident	"AMD clang version 22.0.0git (https://github.com/RadeonOpenCompute/llvm-project roc-7.2.4 26084 f58b06dce1f9c15707c5f808fd002e18c2accf7e)"
	.section	".note.GNU-stack","",@progbits
	.addrsig
	.addrsig_sym __hip_cuid_9afa31aef2f08641
	.amdgpu_metadata
---
amdhsa.kernels:
  - .args:
      - .offset:         0
        .size:           8
        .value_kind:     by_value
      - .offset:         8
        .size:           8
        .value_kind:     by_value
      - .offset:         16
        .size:           8
        .value_kind:     by_value
      - .offset:         24
        .size:           8
        .value_kind:     by_value
      - .offset:         32
        .size:           8
        .value_kind:     by_value
      - .address_space:  global
        .offset:         40
        .size:           8
        .value_kind:     global_buffer
      - .offset:         48
        .size:           8
        .value_kind:     by_value
      - .offset:         56
        .size:           4
        .value_kind:     hidden_block_count_x
      - .offset:         60
        .size:           4
        .value_kind:     hidden_block_count_y
      - .offset:         64
        .size:           4
        .value_kind:     hidden_block_count_z
      - .offset:         68
        .size:           2
        .value_kind:     hidden_group_size_x
      - .offset:         70
        .size:           2
        .value_kind:     hidden_group_size_y
      - .offset:         72
        .size:           2
        .value_kind:     hidden_group_size_z
      - .offset:         74
        .size:           2
        .value_kind:     hidden_remainder_x
      - .offset:         76
        .size:           2
        .value_kind:     hidden_remainder_y
      - .offset:         78
        .size:           2
        .value_kind:     hidden_remainder_z
      - .offset:         96
        .size:           8
        .value_kind:     hidden_global_offset_x
      - .offset:         104
        .size:           8
        .value_kind:     hidden_global_offset_y
      - .offset:         112
        .size:           8
        .value_kind:     hidden_global_offset_z
      - .offset:         120
        .size:           2
        .value_kind:     hidden_grid_dims
      - .offset:         176
        .size:           4
        .value_kind:     hidden_dynamic_lds_size
    .group_segment_fixed_size: 0
    .kernarg_segment_align: 8
    .kernarg_segment_size: 312
    .language:       OpenCL C
    .language_version:
      - 2
      - 0
    .max_flat_workgroup_size: 256
    .name:           _ZN8rajaperf5basic7trapintILm256EEEvdddddPdl
    .private_segment_fixed_size: 0
    .sgpr_count:     28
    .sgpr_spill_count: 0
    .symbol:         _ZN8rajaperf5basic7trapintILm256EEEvdddddPdl.kd
    .uniform_work_group_size: 1
    .uses_dynamic_stack: false
    .vgpr_count:     22
    .vgpr_spill_count: 0
    .wavefront_size: 64
  - .args:
      - .offset:         0
        .size:           80
        .value_kind:     by_value
      - .offset:         80
        .size:           8
        .value_kind:     by_value
      - .offset:         88
        .size:           8
        .value_kind:     by_value
      - .offset:         96
        .size:           1
        .value_kind:     by_value
      - .offset:         104
        .size:           4
        .value_kind:     hidden_block_count_x
      - .offset:         108
        .size:           4
        .value_kind:     hidden_block_count_y
      - .offset:         112
        .size:           4
        .value_kind:     hidden_block_count_z
      - .offset:         116
        .size:           2
        .value_kind:     hidden_group_size_x
      - .offset:         118
        .size:           2
        .value_kind:     hidden_group_size_y
      - .offset:         120
        .size:           2
        .value_kind:     hidden_group_size_z
      - .offset:         122
        .size:           2
        .value_kind:     hidden_remainder_x
      - .offset:         124
        .size:           2
        .value_kind:     hidden_remainder_y
      - .offset:         126
        .size:           2
        .value_kind:     hidden_remainder_z
      - .offset:         144
        .size:           8
        .value_kind:     hidden_global_offset_x
      - .offset:         152
        .size:           8
        .value_kind:     hidden_global_offset_y
      - .offset:         160
        .size:           8
        .value_kind:     hidden_global_offset_z
      - .offset:         168
        .size:           2
        .value_kind:     hidden_grid_dims
    .group_segment_fixed_size: 128
    .kernarg_segment_align: 8
    .kernarg_segment_size: 360
    .language:       OpenCL C
    .language_version:
      - 2
      - 0
    .max_flat_workgroup_size: 256
    .name:           _ZN4RAJA6policy3hip4impl18forallp_hip_kernelINS1_8hip_execINS_17iteration_mapping6DirectENS_3hip11IndexGlobalILNS_9named_dimE0ELi256ELi0EEENS7_40AvoidDeviceMaxThreadOccupancyConcretizerINS7_34FractionOffsetOccupancyConcretizerINS_8FractionImLm1ELm1EEELln1EEEEELb1EEENS_9Iterators16numeric_iteratorIllPlEEZN8rajaperf5basic8TRAP_INT17runHipVariantRAJAILm256ENSM_13gpu_algorithm19block_atomic_helperENSM_11gpu_mapping20global_direct_helperEEEvNSM_9VariantIDEEUllE_lNS_4expt15ForallParamPackIJEEES6_SA_TnNSt9enable_ifIXaasr3std10is_base_ofINS5_10DirectBaseET4_EE5valuegtsrT5_10block_sizeLi0EEmE4typeELm256EEEvT1_T0_T2_T3_
    .private_segment_fixed_size: 0
    .sgpr_count:     28
    .sgpr_spill_count: 0
    .symbol:         _ZN4RAJA6policy3hip4impl18forallp_hip_kernelINS1_8hip_execINS_17iteration_mapping6DirectENS_3hip11IndexGlobalILNS_9named_dimE0ELi256ELi0EEENS7_40AvoidDeviceMaxThreadOccupancyConcretizerINS7_34FractionOffsetOccupancyConcretizerINS_8FractionImLm1ELm1EEELln1EEEEELb1EEENS_9Iterators16numeric_iteratorIllPlEEZN8rajaperf5basic8TRAP_INT17runHipVariantRAJAILm256ENSM_13gpu_algorithm19block_atomic_helperENSM_11gpu_mapping20global_direct_helperEEEvNSM_9VariantIDEEUllE_lNS_4expt15ForallParamPackIJEEES6_SA_TnNSt9enable_ifIXaasr3std10is_base_ofINS5_10DirectBaseET4_EE5valuegtsrT5_10block_sizeLi0EEmE4typeELm256EEEvT1_T0_T2_T3_.kd
    .uniform_work_group_size: 1
    .uses_dynamic_stack: false
    .vgpr_count:     15
    .vgpr_spill_count: 0
    .wavefront_size: 64
  - .args:
      - .offset:         0
        .size:           96
        .value_kind:     by_value
      - .offset:         96
        .size:           8
        .value_kind:     by_value
      - .offset:         104
        .size:           8
        .value_kind:     by_value
      - .offset:         112
        .size:           1
        .value_kind:     by_value
      - .offset:         120
        .size:           4
        .value_kind:     hidden_block_count_x
      - .offset:         124
        .size:           4
        .value_kind:     hidden_block_count_y
      - .offset:         128
        .size:           4
        .value_kind:     hidden_block_count_z
      - .offset:         132
        .size:           2
        .value_kind:     hidden_group_size_x
      - .offset:         134
        .size:           2
        .value_kind:     hidden_group_size_y
      - .offset:         136
        .size:           2
        .value_kind:     hidden_group_size_z
      - .offset:         138
        .size:           2
        .value_kind:     hidden_remainder_x
      - .offset:         140
        .size:           2
        .value_kind:     hidden_remainder_y
      - .offset:         142
        .size:           2
        .value_kind:     hidden_remainder_z
      - .offset:         160
        .size:           8
        .value_kind:     hidden_global_offset_x
      - .offset:         168
        .size:           8
        .value_kind:     hidden_global_offset_y
      - .offset:         176
        .size:           8
        .value_kind:     hidden_global_offset_z
      - .offset:         184
        .size:           2
        .value_kind:     hidden_grid_dims
    .group_segment_fixed_size: 129
    .kernarg_segment_align: 8
    .kernarg_segment_size: 376
    .language:       OpenCL C
    .language_version:
      - 2
      - 0
    .max_flat_workgroup_size: 256
    .name:           _ZN4RAJA6policy3hip4impl18forallp_hip_kernelINS1_8hip_execINS_17iteration_mapping6DirectENS_3hip11IndexGlobalILNS_9named_dimE0ELi256ELi0EEENS7_40AvoidDeviceMaxThreadOccupancyConcretizerINS7_34FractionOffsetOccupancyConcretizerINS_8FractionImLm1ELm1EEELln1EEEEELb1EEENS_9Iterators16numeric_iteratorIllPlEEZN8rajaperf5basic8TRAP_INT17runHipVariantRAJAILm256ENSM_13gpu_algorithm19block_device_helperENSM_11gpu_mapping20global_direct_helperEEEvNSM_9VariantIDEEUllE_lNS_4expt15ForallParamPackIJEEES6_SA_TnNSt9enable_ifIXaasr3std10is_base_ofINS5_10DirectBaseET4_EE5valuegtsrT5_10block_sizeLi0EEmE4typeELm256EEEvT1_T0_T2_T3_
    .private_segment_fixed_size: 0
    .sgpr_count:     32
    .sgpr_spill_count: 0
    .symbol:         _ZN4RAJA6policy3hip4impl18forallp_hip_kernelINS1_8hip_execINS_17iteration_mapping6DirectENS_3hip11IndexGlobalILNS_9named_dimE0ELi256ELi0EEENS7_40AvoidDeviceMaxThreadOccupancyConcretizerINS7_34FractionOffsetOccupancyConcretizerINS_8FractionImLm1ELm1EEELln1EEEEELb1EEENS_9Iterators16numeric_iteratorIllPlEEZN8rajaperf5basic8TRAP_INT17runHipVariantRAJAILm256ENSM_13gpu_algorithm19block_device_helperENSM_11gpu_mapping20global_direct_helperEEEvNSM_9VariantIDEEUllE_lNS_4expt15ForallParamPackIJEEES6_SA_TnNSt9enable_ifIXaasr3std10is_base_ofINS5_10DirectBaseET4_EE5valuegtsrT5_10block_sizeLi0EEmE4typeELm256EEEvT1_T0_T2_T3_.kd
    .uniform_work_group_size: 1
    .uses_dynamic_stack: false
    .vgpr_count:     20
    .vgpr_spill_count: 0
    .wavefront_size: 64
  - .args:
      - .offset:         0
        .size:           40
        .value_kind:     by_value
      - .offset:         40
        .size:           8
        .value_kind:     by_value
      - .offset:         48
        .size:           8
        .value_kind:     by_value
      - .offset:         56
        .size:           40
        .value_kind:     by_value
      - .offset:         96
        .size:           4
        .value_kind:     hidden_block_count_x
      - .offset:         100
        .size:           4
        .value_kind:     hidden_block_count_y
      - .offset:         104
        .size:           4
        .value_kind:     hidden_block_count_z
      - .offset:         108
        .size:           2
        .value_kind:     hidden_group_size_x
      - .offset:         110
        .size:           2
        .value_kind:     hidden_group_size_y
      - .offset:         112
        .size:           2
        .value_kind:     hidden_group_size_z
      - .offset:         114
        .size:           2
        .value_kind:     hidden_remainder_x
      - .offset:         116
        .size:           2
        .value_kind:     hidden_remainder_y
      - .offset:         118
        .size:           2
        .value_kind:     hidden_remainder_z
      - .offset:         136
        .size:           8
        .value_kind:     hidden_global_offset_x
      - .offset:         144
        .size:           8
        .value_kind:     hidden_global_offset_y
      - .offset:         152
        .size:           8
        .value_kind:     hidden_global_offset_z
      - .offset:         160
        .size:           2
        .value_kind:     hidden_grid_dims
    .group_segment_fixed_size: 384
    .kernarg_segment_align: 8
    .kernarg_segment_size: 352
    .language:       OpenCL C
    .language_version:
      - 2
      - 0
    .max_flat_workgroup_size: 256
    .name:           _ZN4RAJA6policy3hip4impl18forallp_hip_kernelINS1_8hip_execINS_17iteration_mapping6DirectENS_3hip11IndexGlobalILNS_9named_dimE0ELi256ELi0EEENS7_40AvoidDeviceMaxThreadOccupancyConcretizerINS7_34FractionOffsetOccupancyConcretizerINS_8FractionImLm1ELm1EEELln1EEEEELb1EEENS_9Iterators16numeric_iteratorIllPlEEZN8rajaperf5basic8TRAP_INT26runHipVariantRAJANewReduceILm256ENSM_11gpu_mapping20global_direct_helperEEEvNSM_9VariantIDEEUllRNS_4expt5ValOpIdNS_9operators4plusEEEE_lNST_15ForallParamPackIJNST_6detail7ReducerINSW_IdddEEdSX_EEEEES6_SA_TnNSt9enable_ifIXaasr3std10is_base_ofINS5_10DirectBaseET4_EE5valuegtsrT5_10block_sizeLi0EEmE4typeELm256EEEvT1_T0_T2_T3_
    .private_segment_fixed_size: 0
    .sgpr_count:     26
    .sgpr_spill_count: 0
    .symbol:         _ZN4RAJA6policy3hip4impl18forallp_hip_kernelINS1_8hip_execINS_17iteration_mapping6DirectENS_3hip11IndexGlobalILNS_9named_dimE0ELi256ELi0EEENS7_40AvoidDeviceMaxThreadOccupancyConcretizerINS7_34FractionOffsetOccupancyConcretizerINS_8FractionImLm1ELm1EEELln1EEEEELb1EEENS_9Iterators16numeric_iteratorIllPlEEZN8rajaperf5basic8TRAP_INT26runHipVariantRAJANewReduceILm256ENSM_11gpu_mapping20global_direct_helperEEEvNSM_9VariantIDEEUllRNS_4expt5ValOpIdNS_9operators4plusEEEE_lNST_15ForallParamPackIJNST_6detail7ReducerINSW_IdddEEdSX_EEEEES6_SA_TnNSt9enable_ifIXaasr3std10is_base_ofINS5_10DirectBaseET4_EE5valuegtsrT5_10block_sizeLi0EEmE4typeELm256EEEvT1_T0_T2_T3_.kd
    .uniform_work_group_size: 1
    .uses_dynamic_stack: false
    .vgpr_count:     15
    .vgpr_spill_count: 0
    .wavefront_size: 64
  - .args:
      - .offset:         0
        .size:           80
        .value_kind:     by_value
      - .offset:         80
        .size:           8
        .value_kind:     by_value
      - .offset:         88
        .size:           8
        .value_kind:     by_value
      - .offset:         96
        .size:           1
        .value_kind:     by_value
      - .offset:         104
        .size:           4
        .value_kind:     hidden_block_count_x
      - .offset:         108
        .size:           4
        .value_kind:     hidden_block_count_y
      - .offset:         112
        .size:           4
        .value_kind:     hidden_block_count_z
      - .offset:         116
        .size:           2
        .value_kind:     hidden_group_size_x
      - .offset:         118
        .size:           2
        .value_kind:     hidden_group_size_y
      - .offset:         120
        .size:           2
        .value_kind:     hidden_group_size_z
      - .offset:         122
        .size:           2
        .value_kind:     hidden_remainder_x
      - .offset:         124
        .size:           2
        .value_kind:     hidden_remainder_y
      - .offset:         126
        .size:           2
        .value_kind:     hidden_remainder_z
      - .offset:         144
        .size:           8
        .value_kind:     hidden_global_offset_x
      - .offset:         152
        .size:           8
        .value_kind:     hidden_global_offset_y
      - .offset:         160
        .size:           8
        .value_kind:     hidden_global_offset_z
      - .offset:         168
        .size:           2
        .value_kind:     hidden_grid_dims
    .group_segment_fixed_size: 128
    .kernarg_segment_align: 8
    .kernarg_segment_size: 360
    .language:       OpenCL C
    .language_version:
      - 2
      - 0
    .max_flat_workgroup_size: 256
    .name:           _ZN4RAJA6policy3hip4impl18forallp_hip_kernelINS1_8hip_execINS_17iteration_mapping11StridedLoopILm0EEENS_3hip11IndexGlobalILNS_9named_dimE0ELi256ELi0EEENS8_40AvoidDeviceMaxThreadOccupancyConcretizerINS8_34FractionOffsetOccupancyConcretizerINS_8FractionImLm1ELm1EEELln1EEEEELb1EEENS_9Iterators16numeric_iteratorIllPlEEZN8rajaperf5basic8TRAP_INT17runHipVariantRAJAILm256ENSN_13gpu_algorithm19block_atomic_helperENSN_11gpu_mapping40global_loop_occupancy_grid_stride_helperEEEvNSN_9VariantIDEEUllE_lNS_4expt15ForallParamPackIJEEES7_SB_TnNSt9enable_ifIXaaaasr3std10is_base_ofINS5_15StridedLoopBaseET4_EE5valuesr3std10is_base_ofINS5_15UnsizedLoopBaseES12_EE5valuegtsrT5_10block_sizeLi0EEmE4typeELm256EEEvT1_T0_T2_T3_
    .private_segment_fixed_size: 0
    .sgpr_count:     36
    .sgpr_spill_count: 0
    .symbol:         _ZN4RAJA6policy3hip4impl18forallp_hip_kernelINS1_8hip_execINS_17iteration_mapping11StridedLoopILm0EEENS_3hip11IndexGlobalILNS_9named_dimE0ELi256ELi0EEENS8_40AvoidDeviceMaxThreadOccupancyConcretizerINS8_34FractionOffsetOccupancyConcretizerINS_8FractionImLm1ELm1EEELln1EEEEELb1EEENS_9Iterators16numeric_iteratorIllPlEEZN8rajaperf5basic8TRAP_INT17runHipVariantRAJAILm256ENSN_13gpu_algorithm19block_atomic_helperENSN_11gpu_mapping40global_loop_occupancy_grid_stride_helperEEEvNSN_9VariantIDEEUllE_lNS_4expt15ForallParamPackIJEEES7_SB_TnNSt9enable_ifIXaaaasr3std10is_base_ofINS5_15StridedLoopBaseET4_EE5valuesr3std10is_base_ofINS5_15UnsizedLoopBaseES12_EE5valuegtsrT5_10block_sizeLi0EEmE4typeELm256EEEvT1_T0_T2_T3_.kd
    .uniform_work_group_size: 1
    .uses_dynamic_stack: false
    .vgpr_count:     26
    .vgpr_spill_count: 0
    .wavefront_size: 64
  - .args:
      - .offset:         0
        .size:           96
        .value_kind:     by_value
      - .offset:         96
        .size:           8
        .value_kind:     by_value
      - .offset:         104
        .size:           8
        .value_kind:     by_value
      - .offset:         112
        .size:           1
        .value_kind:     by_value
      - .offset:         120
        .size:           4
        .value_kind:     hidden_block_count_x
      - .offset:         124
        .size:           4
        .value_kind:     hidden_block_count_y
      - .offset:         128
        .size:           4
        .value_kind:     hidden_block_count_z
      - .offset:         132
        .size:           2
        .value_kind:     hidden_group_size_x
      - .offset:         134
        .size:           2
        .value_kind:     hidden_group_size_y
      - .offset:         136
        .size:           2
        .value_kind:     hidden_group_size_z
      - .offset:         138
        .size:           2
        .value_kind:     hidden_remainder_x
      - .offset:         140
        .size:           2
        .value_kind:     hidden_remainder_y
      - .offset:         142
        .size:           2
        .value_kind:     hidden_remainder_z
      - .offset:         160
        .size:           8
        .value_kind:     hidden_global_offset_x
      - .offset:         168
        .size:           8
        .value_kind:     hidden_global_offset_y
      - .offset:         176
        .size:           8
        .value_kind:     hidden_global_offset_z
      - .offset:         184
        .size:           2
        .value_kind:     hidden_grid_dims
    .group_segment_fixed_size: 129
    .kernarg_segment_align: 8
    .kernarg_segment_size: 376
    .language:       OpenCL C
    .language_version:
      - 2
      - 0
    .max_flat_workgroup_size: 256
    .name:           _ZN4RAJA6policy3hip4impl18forallp_hip_kernelINS1_8hip_execINS_17iteration_mapping11StridedLoopILm0EEENS_3hip11IndexGlobalILNS_9named_dimE0ELi256ELi0EEENS8_40AvoidDeviceMaxThreadOccupancyConcretizerINS8_34FractionOffsetOccupancyConcretizerINS_8FractionImLm1ELm1EEELln1EEEEELb1EEENS_9Iterators16numeric_iteratorIllPlEEZN8rajaperf5basic8TRAP_INT17runHipVariantRAJAILm256ENSN_13gpu_algorithm19block_device_helperENSN_11gpu_mapping40global_loop_occupancy_grid_stride_helperEEEvNSN_9VariantIDEEUllE_lNS_4expt15ForallParamPackIJEEES7_SB_TnNSt9enable_ifIXaaaasr3std10is_base_ofINS5_15StridedLoopBaseET4_EE5valuesr3std10is_base_ofINS5_15UnsizedLoopBaseES12_EE5valuegtsrT5_10block_sizeLi0EEmE4typeELm256EEEvT1_T0_T2_T3_
    .private_segment_fixed_size: 0
    .sgpr_count:     42
    .sgpr_spill_count: 0
    .symbol:         _ZN4RAJA6policy3hip4impl18forallp_hip_kernelINS1_8hip_execINS_17iteration_mapping11StridedLoopILm0EEENS_3hip11IndexGlobalILNS_9named_dimE0ELi256ELi0EEENS8_40AvoidDeviceMaxThreadOccupancyConcretizerINS8_34FractionOffsetOccupancyConcretizerINS_8FractionImLm1ELm1EEELln1EEEEELb1EEENS_9Iterators16numeric_iteratorIllPlEEZN8rajaperf5basic8TRAP_INT17runHipVariantRAJAILm256ENSN_13gpu_algorithm19block_device_helperENSN_11gpu_mapping40global_loop_occupancy_grid_stride_helperEEEvNSN_9VariantIDEEUllE_lNS_4expt15ForallParamPackIJEEES7_SB_TnNSt9enable_ifIXaaaasr3std10is_base_ofINS5_15StridedLoopBaseET4_EE5valuesr3std10is_base_ofINS5_15UnsizedLoopBaseES12_EE5valuegtsrT5_10block_sizeLi0EEmE4typeELm256EEEvT1_T0_T2_T3_.kd
    .uniform_work_group_size: 1
    .uses_dynamic_stack: false
    .vgpr_count:     26
    .vgpr_spill_count: 0
    .wavefront_size: 64
  - .args:
      - .offset:         0
        .size:           40
        .value_kind:     by_value
      - .offset:         40
        .size:           8
        .value_kind:     by_value
      - .offset:         48
        .size:           8
        .value_kind:     by_value
      - .offset:         56
        .size:           40
        .value_kind:     by_value
      - .offset:         96
        .size:           4
        .value_kind:     hidden_block_count_x
      - .offset:         100
        .size:           4
        .value_kind:     hidden_block_count_y
      - .offset:         104
        .size:           4
        .value_kind:     hidden_block_count_z
      - .offset:         108
        .size:           2
        .value_kind:     hidden_group_size_x
      - .offset:         110
        .size:           2
        .value_kind:     hidden_group_size_y
      - .offset:         112
        .size:           2
        .value_kind:     hidden_group_size_z
      - .offset:         114
        .size:           2
        .value_kind:     hidden_remainder_x
      - .offset:         116
        .size:           2
        .value_kind:     hidden_remainder_y
      - .offset:         118
        .size:           2
        .value_kind:     hidden_remainder_z
      - .offset:         136
        .size:           8
        .value_kind:     hidden_global_offset_x
      - .offset:         144
        .size:           8
        .value_kind:     hidden_global_offset_y
      - .offset:         152
        .size:           8
        .value_kind:     hidden_global_offset_z
      - .offset:         160
        .size:           2
        .value_kind:     hidden_grid_dims
    .group_segment_fixed_size: 384
    .kernarg_segment_align: 8
    .kernarg_segment_size: 352
    .language:       OpenCL C
    .language_version:
      - 2
      - 0
    .max_flat_workgroup_size: 256
    .name:           _ZN4RAJA6policy3hip4impl18forallp_hip_kernelINS1_8hip_execINS_17iteration_mapping11StridedLoopILm0EEENS_3hip11IndexGlobalILNS_9named_dimE0ELi256ELi0EEENS8_40AvoidDeviceMaxThreadOccupancyConcretizerINS8_34FractionOffsetOccupancyConcretizerINS_8FractionImLm1ELm1EEELln1EEEEELb1EEENS_9Iterators16numeric_iteratorIllPlEEZN8rajaperf5basic8TRAP_INT26runHipVariantRAJANewReduceILm256ENSN_11gpu_mapping40global_loop_occupancy_grid_stride_helperEEEvNSN_9VariantIDEEUllRNS_4expt5ValOpIdNS_9operators4plusEEEE_lNSU_15ForallParamPackIJNSU_6detail7ReducerINSX_IdddEEdSY_EEEEES7_SB_TnNSt9enable_ifIXaaaasr3std10is_base_ofINS5_15StridedLoopBaseET4_EE5valuesr3std10is_base_ofINS5_15UnsizedLoopBaseES19_EE5valuegtsrT5_10block_sizeLi0EEmE4typeELm256EEEvT1_T0_T2_T3_
    .private_segment_fixed_size: 0
    .sgpr_count:     34
    .sgpr_spill_count: 0
    .symbol:         _ZN4RAJA6policy3hip4impl18forallp_hip_kernelINS1_8hip_execINS_17iteration_mapping11StridedLoopILm0EEENS_3hip11IndexGlobalILNS_9named_dimE0ELi256ELi0EEENS8_40AvoidDeviceMaxThreadOccupancyConcretizerINS8_34FractionOffsetOccupancyConcretizerINS_8FractionImLm1ELm1EEELln1EEEEELb1EEENS_9Iterators16numeric_iteratorIllPlEEZN8rajaperf5basic8TRAP_INT26runHipVariantRAJANewReduceILm256ENSN_11gpu_mapping40global_loop_occupancy_grid_stride_helperEEEvNSN_9VariantIDEEUllRNS_4expt5ValOpIdNS_9operators4plusEEEE_lNSU_15ForallParamPackIJNSU_6detail7ReducerINSX_IdddEEdSY_EEEEES7_SB_TnNSt9enable_ifIXaaaasr3std10is_base_ofINS5_15StridedLoopBaseET4_EE5valuesr3std10is_base_ofINS5_15UnsizedLoopBaseES19_EE5valuegtsrT5_10block_sizeLi0EEmE4typeELm256EEEvT1_T0_T2_T3_.kd
    .uniform_work_group_size: 1
    .uses_dynamic_stack: false
    .vgpr_count:     26
    .vgpr_spill_count: 0
    .wavefront_size: 64
amdhsa.target:   amdgcn-amd-amdhsa--gfx906
amdhsa.version:
  - 1
  - 2
...

	.end_amdgpu_metadata
